;; amdgpu-corpus repo=ROCm/rocSPARSE kind=compiled arch=gfx906 opt=O3
	.amdgcn_target "amdgcn-amd-amdhsa--gfx906"
	.amdhsa_code_object_version 6
	.section	.text._ZN9rocsparseL23coomvn_aos_atomic_loopsILj256ELj1EiffffEEvlNS_24const_host_device_scalarIT5_EEPKT1_PKT2_PKT3_PT4_21rocsparse_index_base_b,"axG",@progbits,_ZN9rocsparseL23coomvn_aos_atomic_loopsILj256ELj1EiffffEEvlNS_24const_host_device_scalarIT5_EEPKT1_PKT2_PKT3_PT4_21rocsparse_index_base_b,comdat
	.globl	_ZN9rocsparseL23coomvn_aos_atomic_loopsILj256ELj1EiffffEEvlNS_24const_host_device_scalarIT5_EEPKT1_PKT2_PKT3_PT4_21rocsparse_index_base_b ; -- Begin function _ZN9rocsparseL23coomvn_aos_atomic_loopsILj256ELj1EiffffEEvlNS_24const_host_device_scalarIT5_EEPKT1_PKT2_PKT3_PT4_21rocsparse_index_base_b
	.p2align	8
	.type	_ZN9rocsparseL23coomvn_aos_atomic_loopsILj256ELj1EiffffEEvlNS_24const_host_device_scalarIT5_EEPKT1_PKT2_PKT3_PT4_21rocsparse_index_base_b,@function
_ZN9rocsparseL23coomvn_aos_atomic_loopsILj256ELj1EiffffEEvlNS_24const_host_device_scalarIT5_EEPKT1_PKT2_PKT3_PT4_21rocsparse_index_base_b: ; @_ZN9rocsparseL23coomvn_aos_atomic_loopsILj256ELj1EiffffEEvlNS_24const_host_device_scalarIT5_EEPKT1_PKT2_PKT3_PT4_21rocsparse_index_base_b
; %bb.0:
	s_load_dwordx2 s[8:9], s[4:5], 0x30
	s_load_dwordx4 s[0:3], s[4:5], 0x0
	s_waitcnt lgkmcnt(0)
	s_bitcmp1_b32 s9, 0
	s_cselect_b64 s[10:11], -1, 0
	s_and_b64 vcc, exec, s[10:11]
	s_cbranch_vccnz .LBB0_2
; %bb.1:
	s_load_dword s2, s[2:3], 0x0
.LBB0_2:
	s_waitcnt lgkmcnt(0)
	v_cmp_eq_f32_e64 s[10:11], s2, 0
	s_and_b64 vcc, exec, s[10:11]
	s_cbranch_vccnz .LBB0_44
; %bb.3:
	v_lshl_or_b32 v1, s6, 8, v0
	v_mov_b32_e32 v2, 0
	v_cmp_gt_i64_e32 vcc, s[0:1], v[1:2]
	v_mov_b32_e32 v3, -1
	s_and_saveexec_b64 s[0:1], vcc
	s_cbranch_execz .LBB0_5
; %bb.4:
	s_load_dwordx4 s[12:15], s[4:5], 0x10
	s_load_dwordx2 s[6:7], s[4:5], 0x20
	v_lshlrev_b64 v[3:4], 3, v[1:2]
	v_lshlrev_b64 v[1:2], 2, v[1:2]
	s_waitcnt lgkmcnt(0)
	v_mov_b32_e32 v5, s13
	v_add_co_u32_e32 v3, vcc, s12, v3
	v_addc_co_u32_e32 v4, vcc, v5, v4, vcc
	global_load_dwordx2 v[3:4], v[3:4], off glc slc
	v_mov_b32_e32 v5, s15
	v_add_co_u32_e32 v1, vcc, s14, v1
	v_addc_co_u32_e32 v2, vcc, v5, v2, vcc
	global_load_dword v5, v[1:2], off glc slc
	v_mov_b32_e32 v6, s7
	s_waitcnt vmcnt(1)
	v_subrev_u32_e32 v1, s8, v4
	v_ashrrev_i32_e32 v2, 31, v1
	v_lshlrev_b64 v[1:2], 2, v[1:2]
	v_subrev_u32_e32 v3, s8, v3
	v_add_co_u32_e32 v1, vcc, s6, v1
	v_addc_co_u32_e32 v2, vcc, v6, v2, vcc
	global_load_dword v1, v[1:2], off
	s_waitcnt vmcnt(0)
	v_mul_f32_e32 v2, v5, v1
.LBB0_5:
	s_or_b64 exec, exec, s[0:1]
	v_lshlrev_b32_e32 v1, 2, v0
	v_or_b32_e32 v4, 0x400, v1
	v_cmp_ne_u32_e32 vcc, 0, v0
	ds_write2st64_b32 v1, v3, v2 offset1:4
	s_waitcnt lgkmcnt(0)
	s_barrier
	s_and_saveexec_b64 s[0:1], vcc
	s_cbranch_execz .LBB0_9
; %bb.6:
	v_add_u32_e32 v5, -4, v1
	ds_read_b32 v5, v5
	s_waitcnt lgkmcnt(0)
	v_cmp_eq_u32_e32 vcc, v3, v5
	s_and_saveexec_b64 s[6:7], vcc
	s_cbranch_execz .LBB0_8
; %bb.7:
	v_add_u32_e32 v5, -4, v4
	ds_read_b32 v5, v5
	s_waitcnt lgkmcnt(0)
	v_add_f32_e32 v2, v2, v5
.LBB0_8:
	s_or_b64 exec, exec, s[6:7]
.LBB0_9:
	s_or_b64 exec, exec, s[0:1]
	v_cmp_lt_u32_e32 vcc, 1, v0
	s_barrier
	ds_write_b32 v4, v2
	s_waitcnt lgkmcnt(0)
	s_barrier
	s_and_saveexec_b64 s[0:1], vcc
	s_cbranch_execz .LBB0_13
; %bb.10:
	v_add_u32_e32 v5, -8, v1
	ds_read_b32 v5, v5
	s_waitcnt lgkmcnt(0)
	v_cmp_eq_u32_e32 vcc, v3, v5
	s_and_saveexec_b64 s[6:7], vcc
	s_cbranch_execz .LBB0_12
; %bb.11:
	v_add_u32_e32 v5, -8, v4
	ds_read_b32 v5, v5
	s_waitcnt lgkmcnt(0)
	v_add_f32_e32 v2, v2, v5
.LBB0_12:
	s_or_b64 exec, exec, s[6:7]
.LBB0_13:
	s_or_b64 exec, exec, s[0:1]
	v_cmp_lt_u32_e32 vcc, 3, v0
	s_barrier
	ds_write_b32 v4, v2
	;; [unrolled: 23-line block ×3, first 2 shown]
	s_waitcnt lgkmcnt(0)
	s_barrier
	s_and_saveexec_b64 s[0:1], vcc
	s_cbranch_execz .LBB0_21
; %bb.18:
	v_subrev_u32_e32 v5, 32, v1
	ds_read_b32 v5, v5
	s_waitcnt lgkmcnt(0)
	v_cmp_eq_u32_e32 vcc, v3, v5
	s_and_saveexec_b64 s[6:7], vcc
	s_cbranch_execz .LBB0_20
; %bb.19:
	v_subrev_u32_e32 v5, 32, v4
	ds_read_b32 v5, v5
	s_waitcnt lgkmcnt(0)
	v_add_f32_e32 v2, v2, v5
.LBB0_20:
	s_or_b64 exec, exec, s[6:7]
.LBB0_21:
	s_or_b64 exec, exec, s[0:1]
	v_cmp_lt_u32_e32 vcc, 15, v0
	s_barrier
	ds_write_b32 v4, v2
	s_waitcnt lgkmcnt(0)
	s_barrier
	s_and_saveexec_b64 s[0:1], vcc
	s_cbranch_execz .LBB0_25
; %bb.22:
	v_subrev_u32_e32 v5, 64, v1
	ds_read_b32 v5, v5
	s_waitcnt lgkmcnt(0)
	v_cmp_eq_u32_e32 vcc, v3, v5
	s_and_saveexec_b64 s[6:7], vcc
	s_cbranch_execz .LBB0_24
; %bb.23:
	v_subrev_u32_e32 v5, 64, v4
	ds_read_b32 v5, v5
	s_waitcnt lgkmcnt(0)
	v_add_f32_e32 v2, v2, v5
.LBB0_24:
	s_or_b64 exec, exec, s[6:7]
.LBB0_25:
	s_or_b64 exec, exec, s[0:1]
	v_cmp_lt_u32_e32 vcc, 31, v0
	s_barrier
	ds_write_b32 v4, v2
	s_waitcnt lgkmcnt(0)
	s_barrier
	s_and_saveexec_b64 s[0:1], vcc
	s_cbranch_execz .LBB0_29
; %bb.26:
	v_add_u32_e32 v5, 0xffffff80, v1
	ds_read_b32 v5, v5
	s_waitcnt lgkmcnt(0)
	v_cmp_eq_u32_e32 vcc, v3, v5
	s_and_saveexec_b64 s[6:7], vcc
	s_cbranch_execz .LBB0_28
; %bb.27:
	v_add_u32_e32 v5, 0xffffff80, v4
	ds_read_b32 v5, v5
	s_waitcnt lgkmcnt(0)
	v_add_f32_e32 v2, v2, v5
.LBB0_28:
	s_or_b64 exec, exec, s[6:7]
.LBB0_29:
	s_or_b64 exec, exec, s[0:1]
	v_cmp_lt_u32_e32 vcc, 63, v0
	s_barrier
	ds_write_b32 v4, v2
	s_waitcnt lgkmcnt(0)
	s_barrier
	s_and_saveexec_b64 s[0:1], vcc
	s_cbranch_execz .LBB0_33
; %bb.30:
	v_add_u32_e32 v5, 0xffffff00, v1
	ds_read_b32 v5, v5
	s_waitcnt lgkmcnt(0)
	v_cmp_eq_u32_e32 vcc, v3, v5
	s_and_saveexec_b64 s[6:7], vcc
	s_cbranch_execz .LBB0_32
; %bb.31:
	v_add_u32_e32 v5, 0xffffff00, v4
	ds_read_b32 v5, v5
	s_waitcnt lgkmcnt(0)
	v_add_f32_e32 v2, v2, v5
.LBB0_32:
	s_or_b64 exec, exec, s[6:7]
.LBB0_33:
	s_or_b64 exec, exec, s[0:1]
	s_load_dwordx2 s[4:5], s[4:5], 0x28
	s_movk_i32 s0, 0x7f
	v_cmp_lt_u32_e32 vcc, s0, v0
	s_waitcnt lgkmcnt(0)
	s_barrier
	ds_write_b32 v4, v2
	s_waitcnt lgkmcnt(0)
	s_barrier
	s_and_saveexec_b64 s[0:1], vcc
	s_cbranch_execz .LBB0_37
; %bb.34:
	v_add_u32_e32 v5, 0xfffffe00, v1
	ds_read_b32 v5, v5
	s_waitcnt lgkmcnt(0)
	v_cmp_eq_u32_e32 vcc, v3, v5
	s_and_saveexec_b64 s[6:7], vcc
	s_cbranch_execz .LBB0_36
; %bb.35:
	v_add_u32_e32 v5, 0xfffffe00, v4
	ds_read_b32 v5, v5
	s_waitcnt lgkmcnt(0)
	v_add_f32_e32 v2, v2, v5
.LBB0_36:
	s_or_b64 exec, exec, s[6:7]
.LBB0_37:
	s_or_b64 exec, exec, s[0:1]
	s_movk_i32 s3, 0xff
	v_cmp_gt_u32_e32 vcc, s3, v0
	s_barrier
	ds_write_b32 v4, v2
	s_waitcnt lgkmcnt(0)
	s_barrier
	s_and_saveexec_b64 s[6:7], vcc
	s_cbranch_execz .LBB0_41
; %bb.38:
	ds_read_b32 v1, v1 offset:4
	v_cmp_lt_i32_e64 s[0:1], -1, v3
	s_waitcnt lgkmcnt(0)
	v_cmp_ne_u32_e32 vcc, v3, v1
	s_and_b64 s[0:1], s[0:1], vcc
	s_and_b64 exec, exec, s[0:1]
	s_cbranch_execz .LBB0_41
; %bb.39:
	v_mov_b32_e32 v4, 0
	v_lshlrev_b64 v[4:5], 2, v[3:4]
	v_mov_b32_e32 v1, s5
	v_add_co_u32_e32 v4, vcc, s4, v4
	v_addc_co_u32_e32 v5, vcc, v1, v5, vcc
	global_load_dword v7, v[4:5], off
	v_mul_f32_e32 v1, s2, v2
	s_mov_b64 s[0:1], 0
.LBB0_40:                               ; =>This Inner Loop Header: Depth=1
	s_waitcnt vmcnt(0)
	v_add_f32_e32 v6, v7, v1
	global_atomic_cmpswap v6, v[4:5], v[6:7], off glc
	s_waitcnt vmcnt(0)
	v_cmp_eq_u32_e32 vcc, v6, v7
	s_or_b64 s[0:1], vcc, s[0:1]
	v_mov_b32_e32 v7, v6
	s_andn2_b64 exec, exec, s[0:1]
	s_cbranch_execnz .LBB0_40
.LBB0_41:
	s_or_b64 exec, exec, s[6:7]
	v_cmp_eq_u32_e32 vcc, s3, v0
	v_cmp_lt_i32_e64 s[0:1], -1, v3
	s_and_b64 s[0:1], vcc, s[0:1]
	s_and_saveexec_b64 s[6:7], s[0:1]
	s_cbranch_execz .LBB0_44
; %bb.42:
	v_mov_b32_e32 v4, 0
	v_lshlrev_b64 v[0:1], 2, v[3:4]
	v_mov_b32_e32 v3, s5
	v_add_co_u32_e32 v0, vcc, s4, v0
	v_addc_co_u32_e32 v1, vcc, v3, v1, vcc
	global_load_dword v3, v[0:1], off
	v_mul_f32_e32 v4, s2, v2
	s_mov_b64 s[0:1], 0
.LBB0_43:                               ; =>This Inner Loop Header: Depth=1
	s_waitcnt vmcnt(0)
	v_add_f32_e32 v2, v3, v4
	global_atomic_cmpswap v2, v[0:1], v[2:3], off glc
	s_waitcnt vmcnt(0)
	v_cmp_eq_u32_e32 vcc, v2, v3
	s_or_b64 s[0:1], vcc, s[0:1]
	v_mov_b32_e32 v3, v2
	s_andn2_b64 exec, exec, s[0:1]
	s_cbranch_execnz .LBB0_43
.LBB0_44:
	s_endpgm
	.section	.rodata,"a",@progbits
	.p2align	6, 0x0
	.amdhsa_kernel _ZN9rocsparseL23coomvn_aos_atomic_loopsILj256ELj1EiffffEEvlNS_24const_host_device_scalarIT5_EEPKT1_PKT2_PKT3_PT4_21rocsparse_index_base_b
		.amdhsa_group_segment_fixed_size 2048
		.amdhsa_private_segment_fixed_size 0
		.amdhsa_kernarg_size 56
		.amdhsa_user_sgpr_count 6
		.amdhsa_user_sgpr_private_segment_buffer 1
		.amdhsa_user_sgpr_dispatch_ptr 0
		.amdhsa_user_sgpr_queue_ptr 0
		.amdhsa_user_sgpr_kernarg_segment_ptr 1
		.amdhsa_user_sgpr_dispatch_id 0
		.amdhsa_user_sgpr_flat_scratch_init 0
		.amdhsa_user_sgpr_private_segment_size 0
		.amdhsa_uses_dynamic_stack 0
		.amdhsa_system_sgpr_private_segment_wavefront_offset 0
		.amdhsa_system_sgpr_workgroup_id_x 1
		.amdhsa_system_sgpr_workgroup_id_y 0
		.amdhsa_system_sgpr_workgroup_id_z 0
		.amdhsa_system_sgpr_workgroup_info 0
		.amdhsa_system_vgpr_workitem_id 0
		.amdhsa_next_free_vgpr 8
		.amdhsa_next_free_sgpr 16
		.amdhsa_reserve_vcc 1
		.amdhsa_reserve_flat_scratch 0
		.amdhsa_float_round_mode_32 0
		.amdhsa_float_round_mode_16_64 0
		.amdhsa_float_denorm_mode_32 3
		.amdhsa_float_denorm_mode_16_64 3
		.amdhsa_dx10_clamp 1
		.amdhsa_ieee_mode 1
		.amdhsa_fp16_overflow 0
		.amdhsa_exception_fp_ieee_invalid_op 0
		.amdhsa_exception_fp_denorm_src 0
		.amdhsa_exception_fp_ieee_div_zero 0
		.amdhsa_exception_fp_ieee_overflow 0
		.amdhsa_exception_fp_ieee_underflow 0
		.amdhsa_exception_fp_ieee_inexact 0
		.amdhsa_exception_int_div_zero 0
	.end_amdhsa_kernel
	.section	.text._ZN9rocsparseL23coomvn_aos_atomic_loopsILj256ELj1EiffffEEvlNS_24const_host_device_scalarIT5_EEPKT1_PKT2_PKT3_PT4_21rocsparse_index_base_b,"axG",@progbits,_ZN9rocsparseL23coomvn_aos_atomic_loopsILj256ELj1EiffffEEvlNS_24const_host_device_scalarIT5_EEPKT1_PKT2_PKT3_PT4_21rocsparse_index_base_b,comdat
.Lfunc_end0:
	.size	_ZN9rocsparseL23coomvn_aos_atomic_loopsILj256ELj1EiffffEEvlNS_24const_host_device_scalarIT5_EEPKT1_PKT2_PKT3_PT4_21rocsparse_index_base_b, .Lfunc_end0-_ZN9rocsparseL23coomvn_aos_atomic_loopsILj256ELj1EiffffEEvlNS_24const_host_device_scalarIT5_EEPKT1_PKT2_PKT3_PT4_21rocsparse_index_base_b
                                        ; -- End function
	.set _ZN9rocsparseL23coomvn_aos_atomic_loopsILj256ELj1EiffffEEvlNS_24const_host_device_scalarIT5_EEPKT1_PKT2_PKT3_PT4_21rocsparse_index_base_b.num_vgpr, 8
	.set _ZN9rocsparseL23coomvn_aos_atomic_loopsILj256ELj1EiffffEEvlNS_24const_host_device_scalarIT5_EEPKT1_PKT2_PKT3_PT4_21rocsparse_index_base_b.num_agpr, 0
	.set _ZN9rocsparseL23coomvn_aos_atomic_loopsILj256ELj1EiffffEEvlNS_24const_host_device_scalarIT5_EEPKT1_PKT2_PKT3_PT4_21rocsparse_index_base_b.numbered_sgpr, 16
	.set _ZN9rocsparseL23coomvn_aos_atomic_loopsILj256ELj1EiffffEEvlNS_24const_host_device_scalarIT5_EEPKT1_PKT2_PKT3_PT4_21rocsparse_index_base_b.num_named_barrier, 0
	.set _ZN9rocsparseL23coomvn_aos_atomic_loopsILj256ELj1EiffffEEvlNS_24const_host_device_scalarIT5_EEPKT1_PKT2_PKT3_PT4_21rocsparse_index_base_b.private_seg_size, 0
	.set _ZN9rocsparseL23coomvn_aos_atomic_loopsILj256ELj1EiffffEEvlNS_24const_host_device_scalarIT5_EEPKT1_PKT2_PKT3_PT4_21rocsparse_index_base_b.uses_vcc, 1
	.set _ZN9rocsparseL23coomvn_aos_atomic_loopsILj256ELj1EiffffEEvlNS_24const_host_device_scalarIT5_EEPKT1_PKT2_PKT3_PT4_21rocsparse_index_base_b.uses_flat_scratch, 0
	.set _ZN9rocsparseL23coomvn_aos_atomic_loopsILj256ELj1EiffffEEvlNS_24const_host_device_scalarIT5_EEPKT1_PKT2_PKT3_PT4_21rocsparse_index_base_b.has_dyn_sized_stack, 0
	.set _ZN9rocsparseL23coomvn_aos_atomic_loopsILj256ELj1EiffffEEvlNS_24const_host_device_scalarIT5_EEPKT1_PKT2_PKT3_PT4_21rocsparse_index_base_b.has_recursion, 0
	.set _ZN9rocsparseL23coomvn_aos_atomic_loopsILj256ELj1EiffffEEvlNS_24const_host_device_scalarIT5_EEPKT1_PKT2_PKT3_PT4_21rocsparse_index_base_b.has_indirect_call, 0
	.section	.AMDGPU.csdata,"",@progbits
; Kernel info:
; codeLenInByte = 1240
; TotalNumSgprs: 20
; NumVgprs: 8
; ScratchSize: 0
; MemoryBound: 0
; FloatMode: 240
; IeeeMode: 1
; LDSByteSize: 2048 bytes/workgroup (compile time only)
; SGPRBlocks: 2
; VGPRBlocks: 1
; NumSGPRsForWavesPerEU: 20
; NumVGPRsForWavesPerEU: 8
; Occupancy: 10
; WaveLimiterHint : 1
; COMPUTE_PGM_RSRC2:SCRATCH_EN: 0
; COMPUTE_PGM_RSRC2:USER_SGPR: 6
; COMPUTE_PGM_RSRC2:TRAP_HANDLER: 0
; COMPUTE_PGM_RSRC2:TGID_X_EN: 1
; COMPUTE_PGM_RSRC2:TGID_Y_EN: 0
; COMPUTE_PGM_RSRC2:TGID_Z_EN: 0
; COMPUTE_PGM_RSRC2:TIDIG_COMP_CNT: 0
	.section	.text._ZN9rocsparseL17coomvt_aos_kernelILj1024EiffffEEv20rocsparse_operation_lNS_24const_host_device_scalarIT4_EEPKT0_PKT1_PKT2_PT3_21rocsparse_index_base_b,"axG",@progbits,_ZN9rocsparseL17coomvt_aos_kernelILj1024EiffffEEv20rocsparse_operation_lNS_24const_host_device_scalarIT4_EEPKT0_PKT1_PKT2_PT3_21rocsparse_index_base_b,comdat
	.globl	_ZN9rocsparseL17coomvt_aos_kernelILj1024EiffffEEv20rocsparse_operation_lNS_24const_host_device_scalarIT4_EEPKT0_PKT1_PKT2_PT3_21rocsparse_index_base_b ; -- Begin function _ZN9rocsparseL17coomvt_aos_kernelILj1024EiffffEEv20rocsparse_operation_lNS_24const_host_device_scalarIT4_EEPKT0_PKT1_PKT2_PT3_21rocsparse_index_base_b
	.p2align	8
	.type	_ZN9rocsparseL17coomvt_aos_kernelILj1024EiffffEEv20rocsparse_operation_lNS_24const_host_device_scalarIT4_EEPKT0_PKT1_PKT2_PT3_21rocsparse_index_base_b,@function
_ZN9rocsparseL17coomvt_aos_kernelILj1024EiffffEEv20rocsparse_operation_lNS_24const_host_device_scalarIT4_EEPKT0_PKT1_PKT2_PT3_21rocsparse_index_base_b: ; @_ZN9rocsparseL17coomvt_aos_kernelILj1024EiffffEEv20rocsparse_operation_lNS_24const_host_device_scalarIT4_EEPKT0_PKT1_PKT2_PT3_21rocsparse_index_base_b
; %bb.0:
	s_load_dwordx2 s[16:17], s[4:5], 0x38
	s_load_dwordx4 s[0:3], s[4:5], 0x8
	s_waitcnt lgkmcnt(0)
	s_bitcmp1_b32 s17, 0
	s_cselect_b64 s[8:9], -1, 0
	s_and_b64 vcc, exec, s[8:9]
	s_cbranch_vccnz .LBB1_2
; %bb.1:
	s_load_dword s2, s[2:3], 0x0
.LBB1_2:
	s_waitcnt lgkmcnt(0)
	v_cmp_eq_f32_e64 s[8:9], s2, 0
	s_and_b64 vcc, exec, s[8:9]
	s_cbranch_vccnz .LBB1_6
; %bb.3:
	s_load_dword s3, s[4:5], 0x4c
	v_mov_b32_e32 v1, 0
	s_waitcnt lgkmcnt(0)
	s_and_b32 s3, s3, 0xffff
	s_mul_i32 s6, s6, s3
	v_add_u32_e32 v0, s6, v0
	v_cmp_gt_i64_e32 vcc, s[0:1], v[0:1]
	s_and_saveexec_b64 s[0:1], vcc
	s_cbranch_execz .LBB1_6
; %bb.4:
	s_load_dwordx8 s[8:15], s[4:5], 0x18
	v_lshlrev_b64 v[2:3], 3, v[0:1]
	v_lshlrev_b64 v[0:1], 2, v[0:1]
	s_mov_b64 s[0:1], 0
	s_waitcnt lgkmcnt(0)
	v_mov_b32_e32 v4, s9
	v_add_co_u32_e32 v2, vcc, s8, v2
	v_addc_co_u32_e32 v3, vcc, v4, v3, vcc
	global_load_dwordx2 v[2:3], v[2:3], off
	v_mov_b32_e32 v4, s11
	v_add_co_u32_e32 v0, vcc, s10, v0
	v_addc_co_u32_e32 v1, vcc, v4, v1, vcc
	global_load_dword v4, v[0:1], off
	v_mov_b32_e32 v6, s13
	v_mov_b32_e32 v5, s15
	s_waitcnt vmcnt(1)
	v_subrev_u32_e32 v0, s16, v2
	v_ashrrev_i32_e32 v1, 31, v0
	v_subrev_u32_e32 v2, s16, v3
	v_lshlrev_b64 v[0:1], 2, v[0:1]
	v_ashrrev_i32_e32 v3, 31, v2
	v_lshlrev_b64 v[2:3], 2, v[2:3]
	v_add_co_u32_e32 v0, vcc, s12, v0
	v_addc_co_u32_e32 v1, vcc, v6, v1, vcc
	global_load_dword v6, v[0:1], off
	v_add_co_u32_e32 v0, vcc, s14, v2
	v_addc_co_u32_e32 v1, vcc, v5, v3, vcc
	global_load_dword v3, v[0:1], off
	s_waitcnt vmcnt(2)
	v_mul_f32_e32 v2, s2, v4
	s_waitcnt vmcnt(1)
	v_mul_f32_e32 v4, v2, v6
.LBB1_5:                                ; =>This Inner Loop Header: Depth=1
	s_waitcnt vmcnt(0)
	v_add_f32_e32 v2, v3, v4
	global_atomic_cmpswap v2, v[0:1], v[2:3], off glc
	s_waitcnt vmcnt(0)
	v_cmp_eq_u32_e32 vcc, v2, v3
	s_or_b64 s[0:1], vcc, s[0:1]
	v_mov_b32_e32 v3, v2
	s_andn2_b64 exec, exec, s[0:1]
	s_cbranch_execnz .LBB1_5
.LBB1_6:
	s_endpgm
	.section	.rodata,"a",@progbits
	.p2align	6, 0x0
	.amdhsa_kernel _ZN9rocsparseL17coomvt_aos_kernelILj1024EiffffEEv20rocsparse_operation_lNS_24const_host_device_scalarIT4_EEPKT0_PKT1_PKT2_PT3_21rocsparse_index_base_b
		.amdhsa_group_segment_fixed_size 0
		.amdhsa_private_segment_fixed_size 0
		.amdhsa_kernarg_size 320
		.amdhsa_user_sgpr_count 6
		.amdhsa_user_sgpr_private_segment_buffer 1
		.amdhsa_user_sgpr_dispatch_ptr 0
		.amdhsa_user_sgpr_queue_ptr 0
		.amdhsa_user_sgpr_kernarg_segment_ptr 1
		.amdhsa_user_sgpr_dispatch_id 0
		.amdhsa_user_sgpr_flat_scratch_init 0
		.amdhsa_user_sgpr_private_segment_size 0
		.amdhsa_uses_dynamic_stack 0
		.amdhsa_system_sgpr_private_segment_wavefront_offset 0
		.amdhsa_system_sgpr_workgroup_id_x 1
		.amdhsa_system_sgpr_workgroup_id_y 0
		.amdhsa_system_sgpr_workgroup_id_z 0
		.amdhsa_system_sgpr_workgroup_info 0
		.amdhsa_system_vgpr_workitem_id 0
		.amdhsa_next_free_vgpr 7
		.amdhsa_next_free_sgpr 18
		.amdhsa_reserve_vcc 1
		.amdhsa_reserve_flat_scratch 0
		.amdhsa_float_round_mode_32 0
		.amdhsa_float_round_mode_16_64 0
		.amdhsa_float_denorm_mode_32 3
		.amdhsa_float_denorm_mode_16_64 3
		.amdhsa_dx10_clamp 1
		.amdhsa_ieee_mode 1
		.amdhsa_fp16_overflow 0
		.amdhsa_exception_fp_ieee_invalid_op 0
		.amdhsa_exception_fp_denorm_src 0
		.amdhsa_exception_fp_ieee_div_zero 0
		.amdhsa_exception_fp_ieee_overflow 0
		.amdhsa_exception_fp_ieee_underflow 0
		.amdhsa_exception_fp_ieee_inexact 0
		.amdhsa_exception_int_div_zero 0
	.end_amdhsa_kernel
	.section	.text._ZN9rocsparseL17coomvt_aos_kernelILj1024EiffffEEv20rocsparse_operation_lNS_24const_host_device_scalarIT4_EEPKT0_PKT1_PKT2_PT3_21rocsparse_index_base_b,"axG",@progbits,_ZN9rocsparseL17coomvt_aos_kernelILj1024EiffffEEv20rocsparse_operation_lNS_24const_host_device_scalarIT4_EEPKT0_PKT1_PKT2_PT3_21rocsparse_index_base_b,comdat
.Lfunc_end1:
	.size	_ZN9rocsparseL17coomvt_aos_kernelILj1024EiffffEEv20rocsparse_operation_lNS_24const_host_device_scalarIT4_EEPKT0_PKT1_PKT2_PT3_21rocsparse_index_base_b, .Lfunc_end1-_ZN9rocsparseL17coomvt_aos_kernelILj1024EiffffEEv20rocsparse_operation_lNS_24const_host_device_scalarIT4_EEPKT0_PKT1_PKT2_PT3_21rocsparse_index_base_b
                                        ; -- End function
	.set _ZN9rocsparseL17coomvt_aos_kernelILj1024EiffffEEv20rocsparse_operation_lNS_24const_host_device_scalarIT4_EEPKT0_PKT1_PKT2_PT3_21rocsparse_index_base_b.num_vgpr, 7
	.set _ZN9rocsparseL17coomvt_aos_kernelILj1024EiffffEEv20rocsparse_operation_lNS_24const_host_device_scalarIT4_EEPKT0_PKT1_PKT2_PT3_21rocsparse_index_base_b.num_agpr, 0
	.set _ZN9rocsparseL17coomvt_aos_kernelILj1024EiffffEEv20rocsparse_operation_lNS_24const_host_device_scalarIT4_EEPKT0_PKT1_PKT2_PT3_21rocsparse_index_base_b.numbered_sgpr, 18
	.set _ZN9rocsparseL17coomvt_aos_kernelILj1024EiffffEEv20rocsparse_operation_lNS_24const_host_device_scalarIT4_EEPKT0_PKT1_PKT2_PT3_21rocsparse_index_base_b.num_named_barrier, 0
	.set _ZN9rocsparseL17coomvt_aos_kernelILj1024EiffffEEv20rocsparse_operation_lNS_24const_host_device_scalarIT4_EEPKT0_PKT1_PKT2_PT3_21rocsparse_index_base_b.private_seg_size, 0
	.set _ZN9rocsparseL17coomvt_aos_kernelILj1024EiffffEEv20rocsparse_operation_lNS_24const_host_device_scalarIT4_EEPKT0_PKT1_PKT2_PT3_21rocsparse_index_base_b.uses_vcc, 1
	.set _ZN9rocsparseL17coomvt_aos_kernelILj1024EiffffEEv20rocsparse_operation_lNS_24const_host_device_scalarIT4_EEPKT0_PKT1_PKT2_PT3_21rocsparse_index_base_b.uses_flat_scratch, 0
	.set _ZN9rocsparseL17coomvt_aos_kernelILj1024EiffffEEv20rocsparse_operation_lNS_24const_host_device_scalarIT4_EEPKT0_PKT1_PKT2_PT3_21rocsparse_index_base_b.has_dyn_sized_stack, 0
	.set _ZN9rocsparseL17coomvt_aos_kernelILj1024EiffffEEv20rocsparse_operation_lNS_24const_host_device_scalarIT4_EEPKT0_PKT1_PKT2_PT3_21rocsparse_index_base_b.has_recursion, 0
	.set _ZN9rocsparseL17coomvt_aos_kernelILj1024EiffffEEv20rocsparse_operation_lNS_24const_host_device_scalarIT4_EEPKT0_PKT1_PKT2_PT3_21rocsparse_index_base_b.has_indirect_call, 0
	.section	.AMDGPU.csdata,"",@progbits
; Kernel info:
; codeLenInByte = 316
; TotalNumSgprs: 22
; NumVgprs: 7
; ScratchSize: 0
; MemoryBound: 0
; FloatMode: 240
; IeeeMode: 1
; LDSByteSize: 0 bytes/workgroup (compile time only)
; SGPRBlocks: 2
; VGPRBlocks: 1
; NumSGPRsForWavesPerEU: 22
; NumVGPRsForWavesPerEU: 7
; Occupancy: 10
; WaveLimiterHint : 1
; COMPUTE_PGM_RSRC2:SCRATCH_EN: 0
; COMPUTE_PGM_RSRC2:USER_SGPR: 6
; COMPUTE_PGM_RSRC2:TRAP_HANDLER: 0
; COMPUTE_PGM_RSRC2:TGID_X_EN: 1
; COMPUTE_PGM_RSRC2:TGID_Y_EN: 0
; COMPUTE_PGM_RSRC2:TGID_Z_EN: 0
; COMPUTE_PGM_RSRC2:TIDIG_COMP_CNT: 0
	.section	.text._ZN9rocsparseL26coomvn_aos_segmented_loopsILj256EiffffEEvlT0_NS_24const_host_device_scalarIT4_EEPKS1_PKT1_PKT2_PT3_PS1_PS3_21rocsparse_index_base_b,"axG",@progbits,_ZN9rocsparseL26coomvn_aos_segmented_loopsILj256EiffffEEvlT0_NS_24const_host_device_scalarIT4_EEPKS1_PKT1_PKT2_PT3_PS1_PS3_21rocsparse_index_base_b,comdat
	.globl	_ZN9rocsparseL26coomvn_aos_segmented_loopsILj256EiffffEEvlT0_NS_24const_host_device_scalarIT4_EEPKS1_PKT1_PKT2_PT3_PS1_PS3_21rocsparse_index_base_b ; -- Begin function _ZN9rocsparseL26coomvn_aos_segmented_loopsILj256EiffffEEvlT0_NS_24const_host_device_scalarIT4_EEPKS1_PKT1_PKT2_PT3_PS1_PS3_21rocsparse_index_base_b
	.p2align	8
	.type	_ZN9rocsparseL26coomvn_aos_segmented_loopsILj256EiffffEEvlT0_NS_24const_host_device_scalarIT4_EEPKS1_PKT1_PKT2_PT3_PS1_PS3_21rocsparse_index_base_b,@function
_ZN9rocsparseL26coomvn_aos_segmented_loopsILj256EiffffEEvlT0_NS_24const_host_device_scalarIT4_EEPKS1_PKT1_PKT2_PT3_PS1_PS3_21rocsparse_index_base_b: ; @_ZN9rocsparseL26coomvn_aos_segmented_loopsILj256EiffffEEvlT0_NS_24const_host_device_scalarIT4_EEPKS1_PKT1_PKT2_PT3_PS1_PS3_21rocsparse_index_base_b
; %bb.0:
	s_load_dwordx2 s[36:37], s[4:5], 0x48
	s_load_dwordx2 s[34:35], s[4:5], 0x10
	s_waitcnt lgkmcnt(0)
	s_bitcmp1_b32 s37, 0
	s_cselect_b64 s[0:1], -1, 0
	s_and_b64 vcc, exec, s[0:1]
	s_cbranch_vccnz .LBB2_2
; %bb.1:
	s_load_dword s34, s[34:35], 0x0
.LBB2_2:
	s_waitcnt lgkmcnt(0)
	v_cmp_eq_f32_e64 s[0:1], s34, 0
	s_and_b64 vcc, exec, s[0:1]
	s_cbranch_vccnz .LBB2_89
; %bb.3:
	s_load_dword s35, s[4:5], 0x8
	s_load_dwordx2 s[38:39], s[4:5], 0x0
	s_load_dwordx4 s[28:31], s[4:5], 0x18
	s_load_dwordx2 s[42:43], s[4:5], 0x28
	v_mov_b32_e32 v2, 0
	s_waitcnt lgkmcnt(0)
	s_mul_i32 s0, s6, s35
	v_lshl_or_b32 v1, s0, 8, v0
	v_cmp_gt_i64_e32 vcc, s[38:39], v[1:2]
	v_lshlrev_b64 v[5:6], 3, v[1:2]
	v_lshlrev_b64 v[7:8], 2, v[1:2]
	v_mov_b32_e32 v3, -1
	s_and_saveexec_b64 s[0:1], vcc
	s_cbranch_execz .LBB2_5
; %bb.4:
	v_mov_b32_e32 v3, s29
	v_add_co_u32_e32 v2, vcc, s28, v5
	v_addc_co_u32_e32 v3, vcc, v3, v6, vcc
	global_load_dwordx2 v[2:3], v[2:3], off glc slc
	v_mov_b32_e32 v4, s31
	v_add_co_u32_e32 v9, vcc, s30, v7
	v_addc_co_u32_e32 v10, vcc, v4, v8, vcc
	v_mov_b32_e32 v11, s43
	s_ashr_i32 s37, s36, 31
	s_lshl_b64 s[2:3], s[36:37], 2
	global_load_dword v9, v[9:10], off glc slc
	v_mov_b32_e32 v10, s3
	s_waitcnt vmcnt(1)
	v_ashrrev_i32_e32 v4, 31, v3
	v_lshlrev_b64 v[3:4], 2, v[3:4]
	v_add_co_u32_e32 v3, vcc, s42, v3
	v_addc_co_u32_e32 v4, vcc, v11, v4, vcc
	v_subrev_co_u32_e32 v3, vcc, s2, v3
	v_subb_co_u32_e32 v4, vcc, v4, v10, vcc
	global_load_dword v4, v[3:4], off
	v_subrev_u32_e32 v3, s36, v2
	s_waitcnt vmcnt(0)
	v_mul_f32_e32 v2, v9, v4
.LBB2_5:
	s_or_b64 exec, exec, s[0:1]
	v_lshlrev_b32_e32 v11, 2, v0
	v_or_b32_e32 v12, 0x400, v11
	v_cmp_eq_u32_e64 s[0:1], 0, v0
	v_cmp_ne_u32_e64 s[2:3], 0, v0
	v_add_u32_e32 v13, -4, v11
	ds_write2st64_b32 v11, v3, v2 offset1:4
	s_waitcnt lgkmcnt(0)
	s_barrier
	s_and_saveexec_b64 s[8:9], s[2:3]
	s_cbranch_execz .LBB2_9
; %bb.6:
	ds_read_b32 v4, v13
	s_waitcnt lgkmcnt(0)
	v_cmp_eq_u32_e32 vcc, v3, v4
	s_and_saveexec_b64 s[10:11], vcc
	s_cbranch_execz .LBB2_8
; %bb.7:
	v_add_u32_e32 v4, -4, v12
	ds_read_b32 v4, v4
	s_waitcnt lgkmcnt(0)
	v_add_f32_e32 v2, v2, v4
.LBB2_8:
	s_or_b64 exec, exec, s[10:11]
.LBB2_9:
	s_or_b64 exec, exec, s[8:9]
	v_cmp_lt_u32_e64 s[22:23], 1, v0
	v_add_u32_e32 v14, -8, v11
	s_barrier
	ds_write_b32 v12, v2
	s_waitcnt lgkmcnt(0)
	s_barrier
	s_and_saveexec_b64 s[8:9], s[22:23]
	s_cbranch_execz .LBB2_13
; %bb.10:
	ds_read_b32 v4, v14
	s_waitcnt lgkmcnt(0)
	v_cmp_eq_u32_e32 vcc, v3, v4
	s_and_saveexec_b64 s[10:11], vcc
	s_cbranch_execz .LBB2_12
; %bb.11:
	v_add_u32_e32 v4, -8, v12
	ds_read_b32 v4, v4
	s_waitcnt lgkmcnt(0)
	v_add_f32_e32 v2, v2, v4
.LBB2_12:
	s_or_b64 exec, exec, s[10:11]
.LBB2_13:
	s_or_b64 exec, exec, s[8:9]
	v_cmp_lt_u32_e64 s[8:9], 3, v0
	v_add_u32_e32 v15, -16, v11
	s_barrier
	ds_write_b32 v12, v2
	s_waitcnt lgkmcnt(0)
	s_barrier
	s_and_saveexec_b64 s[10:11], s[8:9]
	s_cbranch_execz .LBB2_17
; %bb.14:
	ds_read_b32 v4, v15
	s_waitcnt lgkmcnt(0)
	v_cmp_eq_u32_e32 vcc, v3, v4
	s_and_saveexec_b64 s[12:13], vcc
	s_cbranch_execz .LBB2_16
; %bb.15:
	v_add_u32_e32 v4, -16, v12
	ds_read_b32 v4, v4
	s_waitcnt lgkmcnt(0)
	v_add_f32_e32 v2, v2, v4
.LBB2_16:
	s_or_b64 exec, exec, s[12:13]
.LBB2_17:
	s_or_b64 exec, exec, s[10:11]
	v_cmp_lt_u32_e64 s[10:11], 7, v0
	v_subrev_u32_e32 v16, 32, v11
	s_barrier
	ds_write_b32 v12, v2
	s_waitcnt lgkmcnt(0)
	s_barrier
	s_and_saveexec_b64 s[12:13], s[10:11]
	s_cbranch_execz .LBB2_21
; %bb.18:
	ds_read_b32 v4, v16
	s_waitcnt lgkmcnt(0)
	v_cmp_eq_u32_e32 vcc, v3, v4
	s_and_saveexec_b64 s[14:15], vcc
	s_cbranch_execz .LBB2_20
; %bb.19:
	v_subrev_u32_e32 v4, 32, v12
	ds_read_b32 v4, v4
	s_waitcnt lgkmcnt(0)
	v_add_f32_e32 v2, v2, v4
.LBB2_20:
	s_or_b64 exec, exec, s[14:15]
.LBB2_21:
	s_or_b64 exec, exec, s[12:13]
	v_cmp_lt_u32_e64 s[12:13], 15, v0
	v_subrev_u32_e32 v17, 64, v11
	s_barrier
	ds_write_b32 v12, v2
	s_waitcnt lgkmcnt(0)
	s_barrier
	s_and_saveexec_b64 s[14:15], s[12:13]
	s_cbranch_execz .LBB2_25
; %bb.22:
	ds_read_b32 v4, v17
	s_waitcnt lgkmcnt(0)
	v_cmp_eq_u32_e32 vcc, v3, v4
	s_and_saveexec_b64 s[16:17], vcc
	s_cbranch_execz .LBB2_24
; %bb.23:
	v_subrev_u32_e32 v4, 64, v12
	ds_read_b32 v4, v4
	s_waitcnt lgkmcnt(0)
	v_add_f32_e32 v2, v2, v4
.LBB2_24:
	s_or_b64 exec, exec, s[16:17]
.LBB2_25:
	s_or_b64 exec, exec, s[14:15]
	v_cmp_lt_u32_e64 s[14:15], 31, v0
	s_barrier
	ds_write_b32 v12, v2
	s_waitcnt lgkmcnt(0)
	s_barrier
	s_and_saveexec_b64 s[16:17], s[14:15]
	s_cbranch_execz .LBB2_29
; %bb.26:
	v_add_u32_e32 v4, 0xffffff80, v11
	ds_read_b32 v4, v4
	s_waitcnt lgkmcnt(0)
	v_cmp_eq_u32_e32 vcc, v3, v4
	s_and_saveexec_b64 s[18:19], vcc
	s_cbranch_execz .LBB2_28
; %bb.27:
	v_add_u32_e32 v4, 0xffffff80, v12
	ds_read_b32 v4, v4
	s_waitcnt lgkmcnt(0)
	v_add_f32_e32 v2, v2, v4
.LBB2_28:
	s_or_b64 exec, exec, s[18:19]
.LBB2_29:
	s_or_b64 exec, exec, s[16:17]
	v_cmp_lt_u32_e64 s[16:17], 63, v0
	s_barrier
	ds_write_b32 v12, v2
	s_waitcnt lgkmcnt(0)
	s_barrier
	s_and_saveexec_b64 s[18:19], s[16:17]
	s_cbranch_execz .LBB2_33
; %bb.30:
	v_add_u32_e32 v4, 0xffffff00, v11
	ds_read_b32 v4, v4
	s_waitcnt lgkmcnt(0)
	v_cmp_eq_u32_e32 vcc, v3, v4
	s_and_saveexec_b64 s[20:21], vcc
	s_cbranch_execz .LBB2_32
; %bb.31:
	v_add_u32_e32 v4, 0xffffff00, v12
	ds_read_b32 v4, v4
	s_waitcnt lgkmcnt(0)
	v_add_f32_e32 v2, v2, v4
.LBB2_32:
	s_or_b64 exec, exec, s[20:21]
.LBB2_33:
	s_or_b64 exec, exec, s[18:19]
	s_load_dwordx2 s[40:41], s[4:5], 0x30
	s_movk_i32 s7, 0x7f
	v_cmp_lt_u32_e64 s[18:19], s7, v0
	s_waitcnt lgkmcnt(0)
	s_barrier
	ds_write_b32 v12, v2
	s_waitcnt lgkmcnt(0)
	s_barrier
	s_and_saveexec_b64 s[20:21], s[18:19]
	s_cbranch_execz .LBB2_37
; %bb.34:
	v_add_u32_e32 v4, 0xfffffe00, v11
	ds_read_b32 v4, v4
	s_waitcnt lgkmcnt(0)
	v_cmp_eq_u32_e32 vcc, v3, v4
	s_and_saveexec_b64 s[24:25], vcc
	s_cbranch_execz .LBB2_36
; %bb.35:
	v_add_u32_e32 v4, 0xfffffe00, v12
	ds_read_b32 v4, v4
	s_waitcnt lgkmcnt(0)
	v_add_f32_e32 v2, v2, v4
.LBB2_36:
	s_or_b64 exec, exec, s[24:25]
.LBB2_37:
	s_or_b64 exec, exec, s[20:21]
	s_movk_i32 s7, 0xff
	v_cmp_gt_u32_e64 s[20:21], s7, v0
	s_barrier
	ds_write_b32 v12, v2
	s_waitcnt lgkmcnt(0)
	s_barrier
	s_and_saveexec_b64 s[26:27], s[20:21]
	s_cbranch_execz .LBB2_40
; %bb.38:
	ds_read_b32 v4, v11 offset:4
	v_cmp_lt_i32_e64 s[24:25], -1, v3
	s_waitcnt lgkmcnt(0)
	v_cmp_ne_u32_e32 vcc, v3, v4
	s_and_b64 s[24:25], s[24:25], vcc
	s_and_b64 exec, exec, s[24:25]
	s_cbranch_execz .LBB2_40
; %bb.39:
	v_mov_b32_e32 v4, 0
	v_lshlrev_b64 v[9:10], 2, v[3:4]
	v_mov_b32_e32 v4, s41
	v_add_co_u32_e32 v9, vcc, s40, v9
	v_addc_co_u32_e32 v10, vcc, v4, v10, vcc
	global_load_dword v4, v[9:10], off
	s_waitcnt vmcnt(0)
	v_fmac_f32_e32 v4, s34, v2
	global_store_dword v[9:10], v4, off
.LBB2_40:
	s_or_b64 exec, exec, s[26:27]
	s_load_dwordx4 s[24:27], s[4:5], 0x38
	s_cmp_lt_i32 s35, 2
	s_cbranch_scc1 .LBB2_87
; %bb.41:
	v_mov_b32_e32 v2, s31
	v_add_co_u32_e32 v3, vcc, s30, v7
	s_ashr_i32 s37, s36, 31
	v_addc_co_u32_e32 v2, vcc, v2, v8, vcc
	s_lshl_b64 s[4:5], s[36:37], 2
	v_mov_b32_e32 v4, s29
	v_add_co_u32_e32 v7, vcc, s28, v5
	s_sub_u32 s7, s42, s4
	v_addc_co_u32_e32 v4, vcc, v4, v6, vcc
	s_movk_i32 s4, 0x400
	v_add_co_u32_e32 v5, vcc, s4, v3
	v_addc_co_u32_e32 v6, vcc, 0, v2, vcc
	s_movk_i32 s4, 0x800
	v_add_co_u32_e32 v7, vcc, s4, v7
	;; [unrolled: 3-line block ×3, first 2 shown]
	s_subb_u32 s33, s43, s5
	v_add_u32_e32 v18, -8, v12
	v_add_u32_e32 v19, -16, v12
	v_subrev_u32_e32 v20, 32, v12
	v_subrev_u32_e32 v21, 64, v12
	v_add_u32_e32 v22, 0xffffff80, v11
	v_add_u32_e32 v23, 0xffffff80, v12
	;; [unrolled: 1-line block ×6, first 2 shown]
	v_addc_co_u32_e64 v10, s[4:5], 0, 0, vcc
	s_add_i32 s35, s35, -1
	s_mov_b32 s29, 0
	v_mov_b32_e32 v4, 0
	s_branch .LBB2_43
.LBB2_42:                               ;   in Loop: Header=BB2_43 Depth=1
	s_or_b64 exec, exec, s[30:31]
	v_add_co_u32_e32 v5, vcc, 0x400, v5
	v_addc_co_u32_e32 v6, vcc, 0, v6, vcc
	v_add_co_u32_e32 v7, vcc, 0x800, v7
	v_addc_co_u32_e32 v8, vcc, 0, v8, vcc
	v_add_co_u32_e32 v9, vcc, 0x100, v9
	s_add_i32 s35, s35, -1
	s_cmp_eq_u32 s35, 0
	v_addc_co_u32_e32 v10, vcc, 0, v10, vcc
	s_cbranch_scc1 .LBB2_87
.LBB2_43:                               ; =>This Inner Loop Header: Depth=1
	v_cmp_gt_i64_e32 vcc, s[38:39], v[9:10]
	v_mov_b32_e32 v3, -1
	v_mov_b32_e32 v2, 0
	s_and_saveexec_b64 s[4:5], vcc
	s_cbranch_execz .LBB2_45
; %bb.44:                               ;   in Loop: Header=BB2_43 Depth=1
	global_load_dwordx2 v[1:2], v[7:8], off glc slc
	global_load_dword v28, v[5:6], off glc slc
	v_mov_b32_e32 v29, s33
	s_waitcnt vmcnt(1)
	v_ashrrev_i32_e32 v3, 31, v2
	v_lshlrev_b64 v[2:3], 2, v[2:3]
	v_add_co_u32_e32 v2, vcc, s7, v2
	v_addc_co_u32_e32 v3, vcc, v29, v3, vcc
	global_load_dword v2, v[2:3], off
	v_subrev_u32_e32 v3, s36, v1
	s_waitcnt vmcnt(0)
	v_mul_f32_e32 v2, v28, v2
.LBB2_45:                               ;   in Loop: Header=BB2_43 Depth=1
	s_or_b64 exec, exec, s[4:5]
	s_and_saveexec_b64 s[4:5], s[0:1]
	s_cbranch_execz .LBB2_52
; %bb.46:                               ;   in Loop: Header=BB2_43 Depth=1
	ds_read_b32 v1, v4 offset:1020
	s_waitcnt lgkmcnt(0)
	v_readfirstlane_b32 s28, v1
	v_cmp_ne_u32_e32 vcc, v3, v1
	s_and_saveexec_b64 s[30:31], vcc
	s_xor_b64 s[30:31], exec, s[30:31]
	s_cbranch_execz .LBB2_49
; %bb.47:                               ;   in Loop: Header=BB2_43 Depth=1
	s_cmp_lt_i32 s28, 0
	s_cbranch_scc1 .LBB2_49
; %bb.48:                               ;   in Loop: Header=BB2_43 Depth=1
	s_lshl_b64 s[42:43], s[28:29], 2
	s_add_u32 s42, s40, s42
	s_addc_u32 s43, s41, s43
	global_load_dword v1, v4, s[42:43]
	ds_read_b32 v28, v4 offset:2044
	s_waitcnt vmcnt(0) lgkmcnt(0)
	v_fmac_f32_e32 v1, s34, v28
	global_store_dword v4, v1, s[42:43]
.LBB2_49:                               ;   in Loop: Header=BB2_43 Depth=1
	s_andn2_saveexec_b64 s[30:31], s[30:31]
	s_cbranch_execz .LBB2_51
; %bb.50:                               ;   in Loop: Header=BB2_43 Depth=1
	ds_read_b32 v1, v4 offset:2044
	s_waitcnt lgkmcnt(0)
	v_add_f32_e32 v2, v2, v1
.LBB2_51:                               ;   in Loop: Header=BB2_43 Depth=1
	s_or_b64 exec, exec, s[30:31]
.LBB2_52:                               ;   in Loop: Header=BB2_43 Depth=1
	s_or_b64 exec, exec, s[4:5]
	s_waitcnt vmcnt(0) lgkmcnt(0)
	s_barrier
	ds_write_b32 v11, v3
	ds_write_b32 v12, v2
	s_waitcnt lgkmcnt(0)
	s_barrier
	s_and_saveexec_b64 s[4:5], s[2:3]
	s_cbranch_execz .LBB2_56
; %bb.53:                               ;   in Loop: Header=BB2_43 Depth=1
	ds_read_b32 v1, v13
	s_waitcnt lgkmcnt(0)
	v_cmp_eq_u32_e32 vcc, v3, v1
	s_and_saveexec_b64 s[30:31], vcc
	s_cbranch_execz .LBB2_55
; %bb.54:                               ;   in Loop: Header=BB2_43 Depth=1
	v_add_u32_e32 v1, -4, v12
	ds_read_b32 v1, v1
	s_waitcnt lgkmcnt(0)
	v_add_f32_e32 v2, v2, v1
.LBB2_55:                               ;   in Loop: Header=BB2_43 Depth=1
	s_or_b64 exec, exec, s[30:31]
.LBB2_56:                               ;   in Loop: Header=BB2_43 Depth=1
	s_or_b64 exec, exec, s[4:5]
	s_barrier
	ds_write_b32 v12, v2
	s_waitcnt lgkmcnt(0)
	s_barrier
	s_and_saveexec_b64 s[4:5], s[22:23]
	s_cbranch_execz .LBB2_60
; %bb.57:                               ;   in Loop: Header=BB2_43 Depth=1
	ds_read_b32 v1, v14
	s_waitcnt lgkmcnt(0)
	v_cmp_eq_u32_e32 vcc, v3, v1
	s_and_saveexec_b64 s[30:31], vcc
	s_cbranch_execz .LBB2_59
; %bb.58:                               ;   in Loop: Header=BB2_43 Depth=1
	ds_read_b32 v1, v18
	s_waitcnt lgkmcnt(0)
	v_add_f32_e32 v2, v2, v1
.LBB2_59:                               ;   in Loop: Header=BB2_43 Depth=1
	s_or_b64 exec, exec, s[30:31]
.LBB2_60:                               ;   in Loop: Header=BB2_43 Depth=1
	s_or_b64 exec, exec, s[4:5]
	s_barrier
	ds_write_b32 v12, v2
	s_waitcnt lgkmcnt(0)
	s_barrier
	s_and_saveexec_b64 s[4:5], s[8:9]
	s_cbranch_execz .LBB2_64
; %bb.61:                               ;   in Loop: Header=BB2_43 Depth=1
	ds_read_b32 v1, v15
	s_waitcnt lgkmcnt(0)
	v_cmp_eq_u32_e32 vcc, v3, v1
	s_and_saveexec_b64 s[30:31], vcc
	s_cbranch_execz .LBB2_63
; %bb.62:                               ;   in Loop: Header=BB2_43 Depth=1
	ds_read_b32 v1, v19
	s_waitcnt lgkmcnt(0)
	v_add_f32_e32 v2, v2, v1
.LBB2_63:                               ;   in Loop: Header=BB2_43 Depth=1
	s_or_b64 exec, exec, s[30:31]
.LBB2_64:                               ;   in Loop: Header=BB2_43 Depth=1
	;; [unrolled: 20-line block ×7, first 2 shown]
	s_or_b64 exec, exec, s[4:5]
	s_barrier
	ds_write_b32 v12, v2
	s_waitcnt lgkmcnt(0)
	s_barrier
	s_and_saveexec_b64 s[30:31], s[20:21]
	s_cbranch_execz .LBB2_42
; %bb.85:                               ;   in Loop: Header=BB2_43 Depth=1
	ds_read_b32 v1, v11 offset:4
	v_cmp_lt_i32_e64 s[4:5], -1, v3
	s_waitcnt lgkmcnt(0)
	v_cmp_ne_u32_e32 vcc, v3, v1
	s_and_b64 s[4:5], s[4:5], vcc
	s_and_b64 exec, exec, s[4:5]
	s_cbranch_execz .LBB2_42
; %bb.86:                               ;   in Loop: Header=BB2_43 Depth=1
	v_lshlrev_b64 v[28:29], 2, v[3:4]
	v_mov_b32_e32 v1, s41
	v_add_co_u32_e32 v28, vcc, s40, v28
	v_addc_co_u32_e32 v29, vcc, v1, v29, vcc
	global_load_dword v1, v[28:29], off
	s_waitcnt vmcnt(0)
	v_fmac_f32_e32 v1, s34, v2
	global_store_dword v[28:29], v1, off
	s_branch .LBB2_42
.LBB2_87:
	s_movk_i32 s0, 0xff
	v_cmp_eq_u32_e32 vcc, s0, v0
	s_and_saveexec_b64 s[0:1], vcc
	s_cbranch_execz .LBB2_89
; %bb.88:
	s_mov_b32 s7, 0
	s_lshl_b64 s[0:1], s[6:7], 2
	s_waitcnt lgkmcnt(0)
	s_add_u32 s2, s24, s0
	s_addc_u32 s3, s25, s1
	v_mov_b32_e32 v0, 0
	s_add_u32 s0, s26, s0
	v_mul_f32_e32 v1, s34, v2
	s_addc_u32 s1, s27, s1
	global_store_dword v0, v3, s[2:3] glc slc
	global_store_dword v0, v1, s[0:1] glc slc
.LBB2_89:
	s_endpgm
	.section	.rodata,"a",@progbits
	.p2align	6, 0x0
	.amdhsa_kernel _ZN9rocsparseL26coomvn_aos_segmented_loopsILj256EiffffEEvlT0_NS_24const_host_device_scalarIT4_EEPKS1_PKT1_PKT2_PT3_PS1_PS3_21rocsparse_index_base_b
		.amdhsa_group_segment_fixed_size 2048
		.amdhsa_private_segment_fixed_size 0
		.amdhsa_kernarg_size 80
		.amdhsa_user_sgpr_count 6
		.amdhsa_user_sgpr_private_segment_buffer 1
		.amdhsa_user_sgpr_dispatch_ptr 0
		.amdhsa_user_sgpr_queue_ptr 0
		.amdhsa_user_sgpr_kernarg_segment_ptr 1
		.amdhsa_user_sgpr_dispatch_id 0
		.amdhsa_user_sgpr_flat_scratch_init 0
		.amdhsa_user_sgpr_private_segment_size 0
		.amdhsa_uses_dynamic_stack 0
		.amdhsa_system_sgpr_private_segment_wavefront_offset 0
		.amdhsa_system_sgpr_workgroup_id_x 1
		.amdhsa_system_sgpr_workgroup_id_y 0
		.amdhsa_system_sgpr_workgroup_id_z 0
		.amdhsa_system_sgpr_workgroup_info 0
		.amdhsa_system_vgpr_workitem_id 0
		.amdhsa_next_free_vgpr 30
		.amdhsa_next_free_sgpr 44
		.amdhsa_reserve_vcc 1
		.amdhsa_reserve_flat_scratch 0
		.amdhsa_float_round_mode_32 0
		.amdhsa_float_round_mode_16_64 0
		.amdhsa_float_denorm_mode_32 3
		.amdhsa_float_denorm_mode_16_64 3
		.amdhsa_dx10_clamp 1
		.amdhsa_ieee_mode 1
		.amdhsa_fp16_overflow 0
		.amdhsa_exception_fp_ieee_invalid_op 0
		.amdhsa_exception_fp_denorm_src 0
		.amdhsa_exception_fp_ieee_div_zero 0
		.amdhsa_exception_fp_ieee_overflow 0
		.amdhsa_exception_fp_ieee_underflow 0
		.amdhsa_exception_fp_ieee_inexact 0
		.amdhsa_exception_int_div_zero 0
	.end_amdhsa_kernel
	.section	.text._ZN9rocsparseL26coomvn_aos_segmented_loopsILj256EiffffEEvlT0_NS_24const_host_device_scalarIT4_EEPKS1_PKT1_PKT2_PT3_PS1_PS3_21rocsparse_index_base_b,"axG",@progbits,_ZN9rocsparseL26coomvn_aos_segmented_loopsILj256EiffffEEvlT0_NS_24const_host_device_scalarIT4_EEPKS1_PKT1_PKT2_PT3_PS1_PS3_21rocsparse_index_base_b,comdat
.Lfunc_end2:
	.size	_ZN9rocsparseL26coomvn_aos_segmented_loopsILj256EiffffEEvlT0_NS_24const_host_device_scalarIT4_EEPKS1_PKT1_PKT2_PT3_PS1_PS3_21rocsparse_index_base_b, .Lfunc_end2-_ZN9rocsparseL26coomvn_aos_segmented_loopsILj256EiffffEEvlT0_NS_24const_host_device_scalarIT4_EEPKS1_PKT1_PKT2_PT3_PS1_PS3_21rocsparse_index_base_b
                                        ; -- End function
	.set _ZN9rocsparseL26coomvn_aos_segmented_loopsILj256EiffffEEvlT0_NS_24const_host_device_scalarIT4_EEPKS1_PKT1_PKT2_PT3_PS1_PS3_21rocsparse_index_base_b.num_vgpr, 30
	.set _ZN9rocsparseL26coomvn_aos_segmented_loopsILj256EiffffEEvlT0_NS_24const_host_device_scalarIT4_EEPKS1_PKT1_PKT2_PT3_PS1_PS3_21rocsparse_index_base_b.num_agpr, 0
	.set _ZN9rocsparseL26coomvn_aos_segmented_loopsILj256EiffffEEvlT0_NS_24const_host_device_scalarIT4_EEPKS1_PKT1_PKT2_PT3_PS1_PS3_21rocsparse_index_base_b.numbered_sgpr, 44
	.set _ZN9rocsparseL26coomvn_aos_segmented_loopsILj256EiffffEEvlT0_NS_24const_host_device_scalarIT4_EEPKS1_PKT1_PKT2_PT3_PS1_PS3_21rocsparse_index_base_b.num_named_barrier, 0
	.set _ZN9rocsparseL26coomvn_aos_segmented_loopsILj256EiffffEEvlT0_NS_24const_host_device_scalarIT4_EEPKS1_PKT1_PKT2_PT3_PS1_PS3_21rocsparse_index_base_b.private_seg_size, 0
	.set _ZN9rocsparseL26coomvn_aos_segmented_loopsILj256EiffffEEvlT0_NS_24const_host_device_scalarIT4_EEPKS1_PKT1_PKT2_PT3_PS1_PS3_21rocsparse_index_base_b.uses_vcc, 1
	.set _ZN9rocsparseL26coomvn_aos_segmented_loopsILj256EiffffEEvlT0_NS_24const_host_device_scalarIT4_EEPKS1_PKT1_PKT2_PT3_PS1_PS3_21rocsparse_index_base_b.uses_flat_scratch, 0
	.set _ZN9rocsparseL26coomvn_aos_segmented_loopsILj256EiffffEEvlT0_NS_24const_host_device_scalarIT4_EEPKS1_PKT1_PKT2_PT3_PS1_PS3_21rocsparse_index_base_b.has_dyn_sized_stack, 0
	.set _ZN9rocsparseL26coomvn_aos_segmented_loopsILj256EiffffEEvlT0_NS_24const_host_device_scalarIT4_EEPKS1_PKT1_PKT2_PT3_PS1_PS3_21rocsparse_index_base_b.has_recursion, 0
	.set _ZN9rocsparseL26coomvn_aos_segmented_loopsILj256EiffffEEvlT0_NS_24const_host_device_scalarIT4_EEPKS1_PKT1_PKT2_PT3_PS1_PS3_21rocsparse_index_base_b.has_indirect_call, 0
	.section	.AMDGPU.csdata,"",@progbits
; Kernel info:
; codeLenInByte = 2428
; TotalNumSgprs: 48
; NumVgprs: 30
; ScratchSize: 0
; MemoryBound: 0
; FloatMode: 240
; IeeeMode: 1
; LDSByteSize: 2048 bytes/workgroup (compile time only)
; SGPRBlocks: 5
; VGPRBlocks: 7
; NumSGPRsForWavesPerEU: 48
; NumVGPRsForWavesPerEU: 30
; Occupancy: 8
; WaveLimiterHint : 1
; COMPUTE_PGM_RSRC2:SCRATCH_EN: 0
; COMPUTE_PGM_RSRC2:USER_SGPR: 6
; COMPUTE_PGM_RSRC2:TRAP_HANDLER: 0
; COMPUTE_PGM_RSRC2:TGID_X_EN: 1
; COMPUTE_PGM_RSRC2:TGID_Y_EN: 0
; COMPUTE_PGM_RSRC2:TGID_Z_EN: 0
; COMPUTE_PGM_RSRC2:TIDIG_COMP_CNT: 0
	.section	.text._ZN9rocsparseL29coomvn_segmented_loops_reduceILj256EiffEEvT0_NS_24const_host_device_scalarIT2_EEPKS1_PKS3_PT1_b,"axG",@progbits,_ZN9rocsparseL29coomvn_segmented_loops_reduceILj256EiffEEvT0_NS_24const_host_device_scalarIT2_EEPKS1_PKS3_PT1_b,comdat
	.globl	_ZN9rocsparseL29coomvn_segmented_loops_reduceILj256EiffEEvT0_NS_24const_host_device_scalarIT2_EEPKS1_PKS3_PT1_b ; -- Begin function _ZN9rocsparseL29coomvn_segmented_loops_reduceILj256EiffEEvT0_NS_24const_host_device_scalarIT2_EEPKS1_PKS3_PT1_b
	.p2align	8
	.type	_ZN9rocsparseL29coomvn_segmented_loops_reduceILj256EiffEEvT0_NS_24const_host_device_scalarIT2_EEPKS1_PKS3_PT1_b,@function
_ZN9rocsparseL29coomvn_segmented_loops_reduceILj256EiffEEvT0_NS_24const_host_device_scalarIT2_EEPKS1_PKS3_PT1_b: ; @_ZN9rocsparseL29coomvn_segmented_loops_reduceILj256EiffEEvT0_NS_24const_host_device_scalarIT2_EEPKS1_PKS3_PT1_b
; %bb.0:
	s_load_dword s2, s[4:5], 0x28
	s_load_dwordx2 s[0:1], s[4:5], 0x8
	s_waitcnt lgkmcnt(0)
	s_bitcmp1_b32 s2, 0
	s_cselect_b64 s[2:3], -1, 0
	s_and_b64 vcc, exec, s[2:3]
	s_cbranch_vccnz .LBB3_2
; %bb.1:
	s_load_dword s0, s[0:1], 0x0
.LBB3_2:
	s_waitcnt lgkmcnt(0)
	v_cmp_eq_f32_e64 s[0:1], s0, 0
	s_and_b64 vcc, exec, s[0:1]
	s_cbranch_vccnz .LBB3_44
; %bb.3:
	s_load_dword s28, s[4:5], 0x0
	s_waitcnt lgkmcnt(0)
	s_cmp_lt_i32 s28, 1
	s_cbranch_scc1 .LBB3_44
; %bb.4:
	v_subrev_co_u32_e32 v1, vcc, 1, v0
	v_mov_b32_e32 v2, 0x400
	s_load_dwordx4 s[8:11], s[4:5], 0x10
	s_load_dwordx2 s[6:7], s[4:5], 0x20
	s_xor_b64 s[4:5], vcc, -1
	v_lshl_add_u32 v7, v1, 2, v2
	v_subrev_co_u32_e32 v1, vcc, 2, v0
	s_xor_b64 s[12:13], vcc, -1
	v_lshl_add_u32 v8, v1, 2, v2
	v_subrev_co_u32_e32 v1, vcc, 4, v0
	;; [unrolled: 3-line block ×6, first 2 shown]
	s_movk_i32 s0, 0x80
	v_lshlrev_b32_e32 v5, 2, v0
	s_xor_b64 s[22:23], vcc, -1
	v_lshl_add_u32 v18, v1, 2, v2
	v_subrev_co_u32_e32 v1, vcc, s0, v0
	s_movk_i32 s0, 0xff
	v_or_b32_e32 v6, 0x400, v5
	v_add_u32_e32 v9, -16, v5
	v_subrev_u32_e32 v11, 32, v5
	v_subrev_u32_e32 v13, 64, v5
	v_add_u32_e32 v15, 0xffffff80, v5
	v_add_u32_e32 v17, 0xffffff00, v5
	s_xor_b64 s[24:25], vcc, -1
	v_add_u32_e32 v19, 0xfffffe00, v5
	v_lshl_add_u32 v20, v1, 2, v2
	v_cmp_gt_u32_e32 vcc, s0, v0
	s_mov_b32 s29, 0
	v_mov_b32_e32 v2, 0
	s_branch .LBB3_6
.LBB3_5:                                ;   in Loop: Header=BB3_6 Depth=1
	s_or_b64 exec, exec, s[2:3]
	s_addk_i32 s29, 0x100
	s_cmp_lt_i32 s29, s28
	s_waitcnt vmcnt(0)
	s_barrier
	s_cbranch_scc0 .LBB3_44
.LBB3_6:                                ; =>This Inner Loop Header: Depth=1
	v_add_u32_e32 v3, s29, v0
	v_cmp_gt_i32_e64 s[0:1], s28, v3
	v_mov_b32_e32 v1, -1
	v_mov_b32_e32 v4, 0
	s_and_saveexec_b64 s[2:3], s[0:1]
	s_cbranch_execz .LBB3_8
; %bb.7:                                ;   in Loop: Header=BB3_6 Depth=1
	v_ashrrev_i32_e32 v4, 31, v3
	v_lshlrev_b64 v[3:4], 2, v[3:4]
	s_waitcnt lgkmcnt(0)
	v_mov_b32_e32 v1, s11
	v_add_co_u32_e64 v21, s[0:1], s10, v3
	v_addc_co_u32_e64 v22, s[0:1], v1, v4, s[0:1]
	v_mov_b32_e32 v1, s9
	v_add_co_u32_e64 v23, s[0:1], s8, v3
	v_addc_co_u32_e64 v24, s[0:1], v1, v4, s[0:1]
	global_load_dword v1, v[23:24], off
	global_load_dword v4, v[21:22], off
.LBB3_8:                                ;   in Loop: Header=BB3_6 Depth=1
	s_or_b64 exec, exec, s[2:3]
	s_waitcnt vmcnt(1)
	ds_write_b32 v5, v1
	s_waitcnt vmcnt(0)
	ds_write_b32 v6, v4
	v_mov_b32_e32 v1, 0
	v_mov_b32_e32 v3, 0
	s_waitcnt lgkmcnt(0)
	s_barrier
	s_and_saveexec_b64 s[2:3], s[4:5]
	s_cbranch_execz .LBB3_12
; %bb.9:                                ;   in Loop: Header=BB3_6 Depth=1
	v_add_u32_e32 v3, -4, v5
	ds_read2_b32 v[3:4], v3 offset1:1
	s_waitcnt lgkmcnt(0)
	v_cmp_eq_u32_e64 s[0:1], v4, v3
	v_mov_b32_e32 v3, 0
	s_and_saveexec_b64 s[26:27], s[0:1]
; %bb.10:                               ;   in Loop: Header=BB3_6 Depth=1
	ds_read_b32 v3, v7
; %bb.11:                               ;   in Loop: Header=BB3_6 Depth=1
	s_or_b64 exec, exec, s[26:27]
.LBB3_12:                               ;   in Loop: Header=BB3_6 Depth=1
	s_or_b64 exec, exec, s[2:3]
	s_waitcnt lgkmcnt(0)
	s_barrier
	ds_read_b32 v4, v6
	s_waitcnt lgkmcnt(0)
	v_add_f32_e32 v3, v3, v4
	ds_write_b32 v6, v3
	s_waitcnt lgkmcnt(0)
	s_barrier
	s_and_saveexec_b64 s[2:3], s[12:13]
	s_cbranch_execz .LBB3_16
; %bb.13:                               ;   in Loop: Header=BB3_6 Depth=1
	v_add_u32_e32 v1, -8, v5
	ds_read_b32 v3, v5
	ds_read_b32 v1, v1
	s_waitcnt lgkmcnt(0)
	v_cmp_eq_u32_e64 s[0:1], v3, v1
	v_mov_b32_e32 v1, 0
	s_and_saveexec_b64 s[26:27], s[0:1]
; %bb.14:                               ;   in Loop: Header=BB3_6 Depth=1
	ds_read_b32 v1, v8
; %bb.15:                               ;   in Loop: Header=BB3_6 Depth=1
	s_or_b64 exec, exec, s[26:27]
.LBB3_16:                               ;   in Loop: Header=BB3_6 Depth=1
	s_or_b64 exec, exec, s[2:3]
	s_waitcnt lgkmcnt(0)
	s_barrier
	ds_read_b32 v3, v6
	s_waitcnt lgkmcnt(0)
	v_add_f32_e32 v1, v1, v3
	ds_write_b32 v6, v1
	v_mov_b32_e32 v1, 0
	v_mov_b32_e32 v3, 0
	s_waitcnt lgkmcnt(0)
	s_barrier
	s_and_saveexec_b64 s[2:3], s[14:15]
	s_cbranch_execz .LBB3_20
; %bb.17:                               ;   in Loop: Header=BB3_6 Depth=1
	ds_read_b32 v3, v5
	ds_read_b32 v4, v9
	s_waitcnt lgkmcnt(0)
	v_cmp_eq_u32_e64 s[0:1], v3, v4
	v_mov_b32_e32 v3, 0
	s_and_saveexec_b64 s[26:27], s[0:1]
; %bb.18:                               ;   in Loop: Header=BB3_6 Depth=1
	ds_read_b32 v3, v10
; %bb.19:                               ;   in Loop: Header=BB3_6 Depth=1
	s_or_b64 exec, exec, s[26:27]
.LBB3_20:                               ;   in Loop: Header=BB3_6 Depth=1
	s_or_b64 exec, exec, s[2:3]
	s_waitcnt lgkmcnt(0)
	s_barrier
	ds_read_b32 v4, v6
	s_waitcnt lgkmcnt(0)
	v_add_f32_e32 v3, v3, v4
	ds_write_b32 v6, v3
	s_waitcnt lgkmcnt(0)
	s_barrier
	s_and_saveexec_b64 s[2:3], s[16:17]
	s_cbranch_execz .LBB3_24
; %bb.21:                               ;   in Loop: Header=BB3_6 Depth=1
	ds_read_b32 v1, v5
	ds_read_b32 v3, v11
	s_waitcnt lgkmcnt(0)
	v_cmp_eq_u32_e64 s[0:1], v1, v3
	v_mov_b32_e32 v1, 0
	s_and_saveexec_b64 s[26:27], s[0:1]
; %bb.22:                               ;   in Loop: Header=BB3_6 Depth=1
	ds_read_b32 v1, v12
; %bb.23:                               ;   in Loop: Header=BB3_6 Depth=1
	s_or_b64 exec, exec, s[26:27]
.LBB3_24:                               ;   in Loop: Header=BB3_6 Depth=1
	s_or_b64 exec, exec, s[2:3]
	s_waitcnt lgkmcnt(0)
	s_barrier
	ds_read_b32 v3, v6
	s_waitcnt lgkmcnt(0)
	v_add_f32_e32 v1, v1, v3
	ds_write_b32 v6, v1
	v_mov_b32_e32 v1, 0
	v_mov_b32_e32 v3, 0
	s_waitcnt lgkmcnt(0)
	s_barrier
	s_and_saveexec_b64 s[2:3], s[18:19]
	s_cbranch_execz .LBB3_28
; %bb.25:                               ;   in Loop: Header=BB3_6 Depth=1
	ds_read_b32 v3, v5
	ds_read_b32 v4, v13
	s_waitcnt lgkmcnt(0)
	v_cmp_eq_u32_e64 s[0:1], v3, v4
	v_mov_b32_e32 v3, 0
	s_and_saveexec_b64 s[26:27], s[0:1]
; %bb.26:                               ;   in Loop: Header=BB3_6 Depth=1
	ds_read_b32 v3, v14
; %bb.27:                               ;   in Loop: Header=BB3_6 Depth=1
	s_or_b64 exec, exec, s[26:27]
.LBB3_28:                               ;   in Loop: Header=BB3_6 Depth=1
	s_or_b64 exec, exec, s[2:3]
	s_waitcnt lgkmcnt(0)
	s_barrier
	ds_read_b32 v4, v6
	s_waitcnt lgkmcnt(0)
	v_add_f32_e32 v3, v3, v4
	ds_write_b32 v6, v3
	s_waitcnt lgkmcnt(0)
	s_barrier
	s_and_saveexec_b64 s[2:3], s[20:21]
	s_cbranch_execz .LBB3_32
; %bb.29:                               ;   in Loop: Header=BB3_6 Depth=1
	ds_read_b32 v1, v5
	ds_read_b32 v3, v15
	s_waitcnt lgkmcnt(0)
	v_cmp_eq_u32_e64 s[0:1], v1, v3
	v_mov_b32_e32 v1, 0
	s_and_saveexec_b64 s[26:27], s[0:1]
; %bb.30:                               ;   in Loop: Header=BB3_6 Depth=1
	ds_read_b32 v1, v16
; %bb.31:                               ;   in Loop: Header=BB3_6 Depth=1
	s_or_b64 exec, exec, s[26:27]
.LBB3_32:                               ;   in Loop: Header=BB3_6 Depth=1
	;; [unrolled: 48-line block ×3, first 2 shown]
	s_or_b64 exec, exec, s[2:3]
	s_waitcnt lgkmcnt(0)
	s_barrier
	ds_read_b32 v3, v6
	s_waitcnt lgkmcnt(0)
	v_add_f32_e32 v1, v1, v3
	ds_write_b32 v6, v1
	s_waitcnt lgkmcnt(0)
	s_barrier
	ds_read_b32 v1, v5
	v_mov_b32_e32 v3, -1
	s_and_saveexec_b64 s[0:1], vcc
; %bb.41:                               ;   in Loop: Header=BB3_6 Depth=1
	ds_read_b32 v3, v5 offset:4
; %bb.42:                               ;   in Loop: Header=BB3_6 Depth=1
	s_or_b64 exec, exec, s[0:1]
	s_waitcnt lgkmcnt(0)
	v_cmp_ne_u32_e64 s[0:1], v1, v3
	v_cmp_lt_i32_e64 s[2:3], -1, v1
	s_and_b64 s[0:1], s[2:3], s[0:1]
	s_and_saveexec_b64 s[2:3], s[0:1]
	s_cbranch_execz .LBB3_5
; %bb.43:                               ;   in Loop: Header=BB3_6 Depth=1
	v_lshlrev_b64 v[3:4], 2, v[1:2]
	v_mov_b32_e32 v1, s7
	v_add_co_u32_e64 v3, s[0:1], s6, v3
	v_addc_co_u32_e64 v4, s[0:1], v1, v4, s[0:1]
	global_load_dword v1, v[3:4], off
	ds_read_b32 v21, v6
	s_waitcnt vmcnt(0) lgkmcnt(0)
	v_add_f32_e32 v1, v1, v21
	global_store_dword v[3:4], v1, off
	s_branch .LBB3_5
.LBB3_44:
	s_endpgm
	.section	.rodata,"a",@progbits
	.p2align	6, 0x0
	.amdhsa_kernel _ZN9rocsparseL29coomvn_segmented_loops_reduceILj256EiffEEvT0_NS_24const_host_device_scalarIT2_EEPKS1_PKS3_PT1_b
		.amdhsa_group_segment_fixed_size 2048
		.amdhsa_private_segment_fixed_size 0
		.amdhsa_kernarg_size 44
		.amdhsa_user_sgpr_count 6
		.amdhsa_user_sgpr_private_segment_buffer 1
		.amdhsa_user_sgpr_dispatch_ptr 0
		.amdhsa_user_sgpr_queue_ptr 0
		.amdhsa_user_sgpr_kernarg_segment_ptr 1
		.amdhsa_user_sgpr_dispatch_id 0
		.amdhsa_user_sgpr_flat_scratch_init 0
		.amdhsa_user_sgpr_private_segment_size 0
		.amdhsa_uses_dynamic_stack 0
		.amdhsa_system_sgpr_private_segment_wavefront_offset 0
		.amdhsa_system_sgpr_workgroup_id_x 1
		.amdhsa_system_sgpr_workgroup_id_y 0
		.amdhsa_system_sgpr_workgroup_id_z 0
		.amdhsa_system_sgpr_workgroup_info 0
		.amdhsa_system_vgpr_workitem_id 0
		.amdhsa_next_free_vgpr 25
		.amdhsa_next_free_sgpr 30
		.amdhsa_reserve_vcc 1
		.amdhsa_reserve_flat_scratch 0
		.amdhsa_float_round_mode_32 0
		.amdhsa_float_round_mode_16_64 0
		.amdhsa_float_denorm_mode_32 3
		.amdhsa_float_denorm_mode_16_64 3
		.amdhsa_dx10_clamp 1
		.amdhsa_ieee_mode 1
		.amdhsa_fp16_overflow 0
		.amdhsa_exception_fp_ieee_invalid_op 0
		.amdhsa_exception_fp_denorm_src 0
		.amdhsa_exception_fp_ieee_div_zero 0
		.amdhsa_exception_fp_ieee_overflow 0
		.amdhsa_exception_fp_ieee_underflow 0
		.amdhsa_exception_fp_ieee_inexact 0
		.amdhsa_exception_int_div_zero 0
	.end_amdhsa_kernel
	.section	.text._ZN9rocsparseL29coomvn_segmented_loops_reduceILj256EiffEEvT0_NS_24const_host_device_scalarIT2_EEPKS1_PKS3_PT1_b,"axG",@progbits,_ZN9rocsparseL29coomvn_segmented_loops_reduceILj256EiffEEvT0_NS_24const_host_device_scalarIT2_EEPKS1_PKS3_PT1_b,comdat
.Lfunc_end3:
	.size	_ZN9rocsparseL29coomvn_segmented_loops_reduceILj256EiffEEvT0_NS_24const_host_device_scalarIT2_EEPKS1_PKS3_PT1_b, .Lfunc_end3-_ZN9rocsparseL29coomvn_segmented_loops_reduceILj256EiffEEvT0_NS_24const_host_device_scalarIT2_EEPKS1_PKS3_PT1_b
                                        ; -- End function
	.set _ZN9rocsparseL29coomvn_segmented_loops_reduceILj256EiffEEvT0_NS_24const_host_device_scalarIT2_EEPKS1_PKS3_PT1_b.num_vgpr, 25
	.set _ZN9rocsparseL29coomvn_segmented_loops_reduceILj256EiffEEvT0_NS_24const_host_device_scalarIT2_EEPKS1_PKS3_PT1_b.num_agpr, 0
	.set _ZN9rocsparseL29coomvn_segmented_loops_reduceILj256EiffEEvT0_NS_24const_host_device_scalarIT2_EEPKS1_PKS3_PT1_b.numbered_sgpr, 30
	.set _ZN9rocsparseL29coomvn_segmented_loops_reduceILj256EiffEEvT0_NS_24const_host_device_scalarIT2_EEPKS1_PKS3_PT1_b.num_named_barrier, 0
	.set _ZN9rocsparseL29coomvn_segmented_loops_reduceILj256EiffEEvT0_NS_24const_host_device_scalarIT2_EEPKS1_PKS3_PT1_b.private_seg_size, 0
	.set _ZN9rocsparseL29coomvn_segmented_loops_reduceILj256EiffEEvT0_NS_24const_host_device_scalarIT2_EEPKS1_PKS3_PT1_b.uses_vcc, 1
	.set _ZN9rocsparseL29coomvn_segmented_loops_reduceILj256EiffEEvT0_NS_24const_host_device_scalarIT2_EEPKS1_PKS3_PT1_b.uses_flat_scratch, 0
	.set _ZN9rocsparseL29coomvn_segmented_loops_reduceILj256EiffEEvT0_NS_24const_host_device_scalarIT2_EEPKS1_PKS3_PT1_b.has_dyn_sized_stack, 0
	.set _ZN9rocsparseL29coomvn_segmented_loops_reduceILj256EiffEEvT0_NS_24const_host_device_scalarIT2_EEPKS1_PKS3_PT1_b.has_recursion, 0
	.set _ZN9rocsparseL29coomvn_segmented_loops_reduceILj256EiffEEvT0_NS_24const_host_device_scalarIT2_EEPKS1_PKS3_PT1_b.has_indirect_call, 0
	.section	.AMDGPU.csdata,"",@progbits
; Kernel info:
; codeLenInByte = 1428
; TotalNumSgprs: 34
; NumVgprs: 25
; ScratchSize: 0
; MemoryBound: 0
; FloatMode: 240
; IeeeMode: 1
; LDSByteSize: 2048 bytes/workgroup (compile time only)
; SGPRBlocks: 4
; VGPRBlocks: 6
; NumSGPRsForWavesPerEU: 34
; NumVGPRsForWavesPerEU: 25
; Occupancy: 9
; WaveLimiterHint : 0
; COMPUTE_PGM_RSRC2:SCRATCH_EN: 0
; COMPUTE_PGM_RSRC2:USER_SGPR: 6
; COMPUTE_PGM_RSRC2:TRAP_HANDLER: 0
; COMPUTE_PGM_RSRC2:TGID_X_EN: 1
; COMPUTE_PGM_RSRC2:TGID_Y_EN: 0
; COMPUTE_PGM_RSRC2:TGID_Z_EN: 0
; COMPUTE_PGM_RSRC2:TIDIG_COMP_CNT: 0
	.section	.text._ZN9rocsparseL23coomvn_aos_atomic_loopsILj256ELj1ElffffEEvlNS_24const_host_device_scalarIT5_EEPKT1_PKT2_PKT3_PT4_21rocsparse_index_base_b,"axG",@progbits,_ZN9rocsparseL23coomvn_aos_atomic_loopsILj256ELj1ElffffEEvlNS_24const_host_device_scalarIT5_EEPKT1_PKT2_PKT3_PT4_21rocsparse_index_base_b,comdat
	.globl	_ZN9rocsparseL23coomvn_aos_atomic_loopsILj256ELj1ElffffEEvlNS_24const_host_device_scalarIT5_EEPKT1_PKT2_PKT3_PT4_21rocsparse_index_base_b ; -- Begin function _ZN9rocsparseL23coomvn_aos_atomic_loopsILj256ELj1ElffffEEvlNS_24const_host_device_scalarIT5_EEPKT1_PKT2_PKT3_PT4_21rocsparse_index_base_b
	.p2align	8
	.type	_ZN9rocsparseL23coomvn_aos_atomic_loopsILj256ELj1ElffffEEvlNS_24const_host_device_scalarIT5_EEPKT1_PKT2_PKT3_PT4_21rocsparse_index_base_b,@function
_ZN9rocsparseL23coomvn_aos_atomic_loopsILj256ELj1ElffffEEvlNS_24const_host_device_scalarIT5_EEPKT1_PKT2_PKT3_PT4_21rocsparse_index_base_b: ; @_ZN9rocsparseL23coomvn_aos_atomic_loopsILj256ELj1ElffffEEvlNS_24const_host_device_scalarIT5_EEPKT1_PKT2_PKT3_PT4_21rocsparse_index_base_b
; %bb.0:
	s_load_dwordx2 s[8:9], s[4:5], 0x30
	s_load_dwordx4 s[0:3], s[4:5], 0x0
	s_waitcnt lgkmcnt(0)
	s_bitcmp1_b32 s9, 0
	s_cselect_b64 s[10:11], -1, 0
	s_and_b64 vcc, exec, s[10:11]
	s_cbranch_vccnz .LBB4_2
; %bb.1:
	s_load_dword s2, s[2:3], 0x0
.LBB4_2:
	s_waitcnt lgkmcnt(0)
	v_cmp_eq_f32_e64 s[10:11], s2, 0
	s_and_b64 vcc, exec, s[10:11]
	s_cbranch_vccnz .LBB4_44
; %bb.3:
	v_lshl_or_b32 v1, s6, 8, v0
	v_mov_b32_e32 v2, 0
	v_cmp_gt_i64_e32 vcc, s[0:1], v[1:2]
	v_mov_b32_e32 v3, -1
	v_mov_b32_e32 v4, -1
	s_and_saveexec_b64 s[0:1], vcc
	s_cbranch_execz .LBB4_5
; %bb.4:
	s_load_dwordx4 s[12:15], s[4:5], 0x10
	s_load_dwordx2 s[6:7], s[4:5], 0x20
	v_lshlrev_b64 v[3:4], 4, v[1:2]
	v_lshlrev_b64 v[1:2], 2, v[1:2]
	s_waitcnt lgkmcnt(0)
	v_mov_b32_e32 v5, s13
	v_add_co_u32_e32 v3, vcc, s12, v3
	v_addc_co_u32_e32 v4, vcc, v5, v4, vcc
	global_load_dwordx4 v[3:6], v[3:4], off glc slc
	v_mov_b32_e32 v7, s15
	v_add_co_u32_e32 v1, vcc, s14, v1
	v_addc_co_u32_e32 v2, vcc, v7, v2, vcc
	global_load_dword v7, v[1:2], off glc slc
	v_mov_b32_e32 v8, s7
	s_waitcnt vmcnt(1)
	v_subrev_co_u32_e32 v1, vcc, s8, v5
	v_subbrev_co_u32_e32 v2, vcc, 0, v6, vcc
	v_lshlrev_b64 v[1:2], 2, v[1:2]
	v_add_co_u32_e32 v1, vcc, s6, v1
	v_addc_co_u32_e32 v2, vcc, v8, v2, vcc
	global_load_dword v1, v[1:2], off
	v_subrev_co_u32_e32 v3, vcc, s8, v3
	v_subbrev_co_u32_e32 v4, vcc, 0, v4, vcc
	s_waitcnt vmcnt(0)
	v_mul_f32_e32 v2, v7, v1
.LBB4_5:
	s_or_b64 exec, exec, s[0:1]
	v_lshlrev_b32_e32 v6, 2, v0
	v_lshlrev_b32_e32 v1, 3, v0
	v_or_b32_e32 v5, 0x800, v6
	v_cmp_ne_u32_e32 vcc, 0, v0
	ds_write_b64 v1, v[3:4]
	ds_write_b32 v6, v2 offset:2048
	s_waitcnt lgkmcnt(0)
	s_barrier
	s_and_saveexec_b64 s[0:1], vcc
	s_cbranch_execz .LBB4_9
; %bb.6:
	v_add_u32_e32 v6, -8, v1
	ds_read_b64 v[6:7], v6
	s_waitcnt lgkmcnt(0)
	v_cmp_eq_u64_e32 vcc, v[3:4], v[6:7]
	s_and_saveexec_b64 s[6:7], vcc
	s_cbranch_execz .LBB4_8
; %bb.7:
	v_add_u32_e32 v6, -4, v5
	ds_read_b32 v6, v6
	s_waitcnt lgkmcnt(0)
	v_add_f32_e32 v2, v2, v6
.LBB4_8:
	s_or_b64 exec, exec, s[6:7]
.LBB4_9:
	s_or_b64 exec, exec, s[0:1]
	v_cmp_lt_u32_e32 vcc, 1, v0
	s_barrier
	ds_write_b32 v5, v2
	s_waitcnt lgkmcnt(0)
	s_barrier
	s_and_saveexec_b64 s[0:1], vcc
	s_cbranch_execz .LBB4_13
; %bb.10:
	v_add_u32_e32 v6, -16, v1
	ds_read_b64 v[6:7], v6
	s_waitcnt lgkmcnt(0)
	v_cmp_eq_u64_e32 vcc, v[3:4], v[6:7]
	s_and_saveexec_b64 s[6:7], vcc
	s_cbranch_execz .LBB4_12
; %bb.11:
	v_add_u32_e32 v6, -8, v5
	ds_read_b32 v6, v6
	s_waitcnt lgkmcnt(0)
	v_add_f32_e32 v2, v2, v6
.LBB4_12:
	s_or_b64 exec, exec, s[6:7]
.LBB4_13:
	s_or_b64 exec, exec, s[0:1]
	v_cmp_lt_u32_e32 vcc, 3, v0
	s_barrier
	ds_write_b32 v5, v2
	s_waitcnt lgkmcnt(0)
	s_barrier
	s_and_saveexec_b64 s[0:1], vcc
	s_cbranch_execz .LBB4_17
; %bb.14:
	v_subrev_u32_e32 v6, 32, v1
	ds_read_b64 v[6:7], v6
	s_waitcnt lgkmcnt(0)
	v_cmp_eq_u64_e32 vcc, v[3:4], v[6:7]
	s_and_saveexec_b64 s[6:7], vcc
	s_cbranch_execz .LBB4_16
; %bb.15:
	v_add_u32_e32 v6, -16, v5
	ds_read_b32 v6, v6
	s_waitcnt lgkmcnt(0)
	v_add_f32_e32 v2, v2, v6
.LBB4_16:
	s_or_b64 exec, exec, s[6:7]
.LBB4_17:
	s_or_b64 exec, exec, s[0:1]
	v_cmp_lt_u32_e32 vcc, 7, v0
	s_barrier
	ds_write_b32 v5, v2
	s_waitcnt lgkmcnt(0)
	s_barrier
	s_and_saveexec_b64 s[0:1], vcc
	s_cbranch_execz .LBB4_21
; %bb.18:
	v_subrev_u32_e32 v6, 64, v1
	ds_read_b64 v[6:7], v6
	s_waitcnt lgkmcnt(0)
	v_cmp_eq_u64_e32 vcc, v[3:4], v[6:7]
	s_and_saveexec_b64 s[6:7], vcc
	s_cbranch_execz .LBB4_20
; %bb.19:
	v_subrev_u32_e32 v6, 32, v5
	ds_read_b32 v6, v6
	s_waitcnt lgkmcnt(0)
	v_add_f32_e32 v2, v2, v6
.LBB4_20:
	s_or_b64 exec, exec, s[6:7]
.LBB4_21:
	s_or_b64 exec, exec, s[0:1]
	v_cmp_lt_u32_e32 vcc, 15, v0
	s_barrier
	ds_write_b32 v5, v2
	s_waitcnt lgkmcnt(0)
	s_barrier
	s_and_saveexec_b64 s[0:1], vcc
	s_cbranch_execz .LBB4_25
; %bb.22:
	v_add_u32_e32 v6, 0xffffff80, v1
	ds_read_b64 v[6:7], v6
	s_waitcnt lgkmcnt(0)
	v_cmp_eq_u64_e32 vcc, v[3:4], v[6:7]
	s_and_saveexec_b64 s[6:7], vcc
	s_cbranch_execz .LBB4_24
; %bb.23:
	v_subrev_u32_e32 v6, 64, v5
	ds_read_b32 v6, v6
	s_waitcnt lgkmcnt(0)
	v_add_f32_e32 v2, v2, v6
.LBB4_24:
	s_or_b64 exec, exec, s[6:7]
.LBB4_25:
	s_or_b64 exec, exec, s[0:1]
	v_cmp_lt_u32_e32 vcc, 31, v0
	s_barrier
	ds_write_b32 v5, v2
	s_waitcnt lgkmcnt(0)
	s_barrier
	s_and_saveexec_b64 s[0:1], vcc
	s_cbranch_execz .LBB4_29
; %bb.26:
	v_add_u32_e32 v6, 0xffffff00, v1
	ds_read_b64 v[6:7], v6
	s_waitcnt lgkmcnt(0)
	v_cmp_eq_u64_e32 vcc, v[3:4], v[6:7]
	s_and_saveexec_b64 s[6:7], vcc
	s_cbranch_execz .LBB4_28
; %bb.27:
	v_add_u32_e32 v6, 0xffffff80, v5
	ds_read_b32 v6, v6
	s_waitcnt lgkmcnt(0)
	v_add_f32_e32 v2, v2, v6
.LBB4_28:
	s_or_b64 exec, exec, s[6:7]
.LBB4_29:
	s_or_b64 exec, exec, s[0:1]
	v_cmp_lt_u32_e32 vcc, 63, v0
	s_barrier
	ds_write_b32 v5, v2
	s_waitcnt lgkmcnt(0)
	s_barrier
	s_and_saveexec_b64 s[0:1], vcc
	s_cbranch_execz .LBB4_33
; %bb.30:
	v_add_u32_e32 v6, 0xfffffe00, v1
	ds_read_b64 v[6:7], v6
	s_waitcnt lgkmcnt(0)
	v_cmp_eq_u64_e32 vcc, v[3:4], v[6:7]
	s_and_saveexec_b64 s[6:7], vcc
	s_cbranch_execz .LBB4_32
; %bb.31:
	v_add_u32_e32 v6, 0xffffff00, v5
	ds_read_b32 v6, v6
	s_waitcnt lgkmcnt(0)
	v_add_f32_e32 v2, v2, v6
.LBB4_32:
	s_or_b64 exec, exec, s[6:7]
.LBB4_33:
	s_or_b64 exec, exec, s[0:1]
	s_load_dwordx2 s[4:5], s[4:5], 0x28
	s_movk_i32 s0, 0x7f
	v_cmp_lt_u32_e32 vcc, s0, v0
	s_waitcnt lgkmcnt(0)
	s_barrier
	ds_write_b32 v5, v2
	s_waitcnt lgkmcnt(0)
	s_barrier
	s_and_saveexec_b64 s[0:1], vcc
	s_cbranch_execz .LBB4_37
; %bb.34:
	v_add_u32_e32 v6, 0xfffffc00, v1
	ds_read_b64 v[6:7], v6
	s_waitcnt lgkmcnt(0)
	v_cmp_eq_u64_e32 vcc, v[3:4], v[6:7]
	s_and_saveexec_b64 s[6:7], vcc
	s_cbranch_execz .LBB4_36
; %bb.35:
	v_add_u32_e32 v6, 0xfffffe00, v5
	ds_read_b32 v6, v6
	s_waitcnt lgkmcnt(0)
	v_add_f32_e32 v2, v2, v6
.LBB4_36:
	s_or_b64 exec, exec, s[6:7]
.LBB4_37:
	s_or_b64 exec, exec, s[0:1]
	s_movk_i32 s3, 0xff
	v_cmp_gt_u32_e32 vcc, s3, v0
	s_barrier
	ds_write_b32 v5, v2
	s_waitcnt lgkmcnt(0)
	s_barrier
	s_and_saveexec_b64 s[6:7], vcc
	s_cbranch_execz .LBB4_41
; %bb.38:
	ds_read_b64 v[5:6], v1 offset:8
	v_cmp_lt_i64_e64 s[0:1], -1, v[3:4]
	s_waitcnt lgkmcnt(0)
	v_cmp_ne_u64_e32 vcc, v[3:4], v[5:6]
	s_and_b64 s[0:1], s[0:1], vcc
	s_and_b64 exec, exec, s[0:1]
	s_cbranch_execz .LBB4_41
; %bb.39:
	v_lshlrev_b64 v[5:6], 2, v[3:4]
	v_mov_b32_e32 v1, s5
	v_add_co_u32_e32 v5, vcc, s4, v5
	v_addc_co_u32_e32 v6, vcc, v1, v6, vcc
	global_load_dword v8, v[5:6], off
	v_mul_f32_e32 v1, s2, v2
	s_mov_b64 s[0:1], 0
.LBB4_40:                               ; =>This Inner Loop Header: Depth=1
	s_waitcnt vmcnt(0)
	v_add_f32_e32 v7, v8, v1
	global_atomic_cmpswap v7, v[5:6], v[7:8], off glc
	s_waitcnt vmcnt(0)
	v_cmp_eq_u32_e32 vcc, v7, v8
	s_or_b64 s[0:1], vcc, s[0:1]
	v_mov_b32_e32 v8, v7
	s_andn2_b64 exec, exec, s[0:1]
	s_cbranch_execnz .LBB4_40
.LBB4_41:
	s_or_b64 exec, exec, s[6:7]
	v_cmp_lt_i64_e32 vcc, -1, v[3:4]
	v_cmp_eq_u32_e64 s[0:1], s3, v0
	s_and_b64 s[0:1], s[0:1], vcc
	s_and_saveexec_b64 s[6:7], s[0:1]
	s_cbranch_execz .LBB4_44
; %bb.42:
	v_lshlrev_b64 v[0:1], 2, v[3:4]
	v_mov_b32_e32 v3, s5
	v_add_co_u32_e32 v0, vcc, s4, v0
	v_addc_co_u32_e32 v1, vcc, v3, v1, vcc
	global_load_dword v3, v[0:1], off
	v_mul_f32_e32 v4, s2, v2
	s_mov_b64 s[0:1], 0
.LBB4_43:                               ; =>This Inner Loop Header: Depth=1
	s_waitcnt vmcnt(0)
	v_add_f32_e32 v2, v3, v4
	global_atomic_cmpswap v2, v[0:1], v[2:3], off glc
	s_waitcnt vmcnt(0)
	v_cmp_eq_u32_e32 vcc, v2, v3
	s_or_b64 s[0:1], vcc, s[0:1]
	v_mov_b32_e32 v3, v2
	s_andn2_b64 exec, exec, s[0:1]
	s_cbranch_execnz .LBB4_43
.LBB4_44:
	s_endpgm
	.section	.rodata,"a",@progbits
	.p2align	6, 0x0
	.amdhsa_kernel _ZN9rocsparseL23coomvn_aos_atomic_loopsILj256ELj1ElffffEEvlNS_24const_host_device_scalarIT5_EEPKT1_PKT2_PKT3_PT4_21rocsparse_index_base_b
		.amdhsa_group_segment_fixed_size 3072
		.amdhsa_private_segment_fixed_size 0
		.amdhsa_kernarg_size 56
		.amdhsa_user_sgpr_count 6
		.amdhsa_user_sgpr_private_segment_buffer 1
		.amdhsa_user_sgpr_dispatch_ptr 0
		.amdhsa_user_sgpr_queue_ptr 0
		.amdhsa_user_sgpr_kernarg_segment_ptr 1
		.amdhsa_user_sgpr_dispatch_id 0
		.amdhsa_user_sgpr_flat_scratch_init 0
		.amdhsa_user_sgpr_private_segment_size 0
		.amdhsa_uses_dynamic_stack 0
		.amdhsa_system_sgpr_private_segment_wavefront_offset 0
		.amdhsa_system_sgpr_workgroup_id_x 1
		.amdhsa_system_sgpr_workgroup_id_y 0
		.amdhsa_system_sgpr_workgroup_id_z 0
		.amdhsa_system_sgpr_workgroup_info 0
		.amdhsa_system_vgpr_workitem_id 0
		.amdhsa_next_free_vgpr 9
		.amdhsa_next_free_sgpr 16
		.amdhsa_reserve_vcc 1
		.amdhsa_reserve_flat_scratch 0
		.amdhsa_float_round_mode_32 0
		.amdhsa_float_round_mode_16_64 0
		.amdhsa_float_denorm_mode_32 3
		.amdhsa_float_denorm_mode_16_64 3
		.amdhsa_dx10_clamp 1
		.amdhsa_ieee_mode 1
		.amdhsa_fp16_overflow 0
		.amdhsa_exception_fp_ieee_invalid_op 0
		.amdhsa_exception_fp_denorm_src 0
		.amdhsa_exception_fp_ieee_div_zero 0
		.amdhsa_exception_fp_ieee_overflow 0
		.amdhsa_exception_fp_ieee_underflow 0
		.amdhsa_exception_fp_ieee_inexact 0
		.amdhsa_exception_int_div_zero 0
	.end_amdhsa_kernel
	.section	.text._ZN9rocsparseL23coomvn_aos_atomic_loopsILj256ELj1ElffffEEvlNS_24const_host_device_scalarIT5_EEPKT1_PKT2_PKT3_PT4_21rocsparse_index_base_b,"axG",@progbits,_ZN9rocsparseL23coomvn_aos_atomic_loopsILj256ELj1ElffffEEvlNS_24const_host_device_scalarIT5_EEPKT1_PKT2_PKT3_PT4_21rocsparse_index_base_b,comdat
.Lfunc_end4:
	.size	_ZN9rocsparseL23coomvn_aos_atomic_loopsILj256ELj1ElffffEEvlNS_24const_host_device_scalarIT5_EEPKT1_PKT2_PKT3_PT4_21rocsparse_index_base_b, .Lfunc_end4-_ZN9rocsparseL23coomvn_aos_atomic_loopsILj256ELj1ElffffEEvlNS_24const_host_device_scalarIT5_EEPKT1_PKT2_PKT3_PT4_21rocsparse_index_base_b
                                        ; -- End function
	.set _ZN9rocsparseL23coomvn_aos_atomic_loopsILj256ELj1ElffffEEvlNS_24const_host_device_scalarIT5_EEPKT1_PKT2_PKT3_PT4_21rocsparse_index_base_b.num_vgpr, 9
	.set _ZN9rocsparseL23coomvn_aos_atomic_loopsILj256ELj1ElffffEEvlNS_24const_host_device_scalarIT5_EEPKT1_PKT2_PKT3_PT4_21rocsparse_index_base_b.num_agpr, 0
	.set _ZN9rocsparseL23coomvn_aos_atomic_loopsILj256ELj1ElffffEEvlNS_24const_host_device_scalarIT5_EEPKT1_PKT2_PKT3_PT4_21rocsparse_index_base_b.numbered_sgpr, 16
	.set _ZN9rocsparseL23coomvn_aos_atomic_loopsILj256ELj1ElffffEEvlNS_24const_host_device_scalarIT5_EEPKT1_PKT2_PKT3_PT4_21rocsparse_index_base_b.num_named_barrier, 0
	.set _ZN9rocsparseL23coomvn_aos_atomic_loopsILj256ELj1ElffffEEvlNS_24const_host_device_scalarIT5_EEPKT1_PKT2_PKT3_PT4_21rocsparse_index_base_b.private_seg_size, 0
	.set _ZN9rocsparseL23coomvn_aos_atomic_loopsILj256ELj1ElffffEEvlNS_24const_host_device_scalarIT5_EEPKT1_PKT2_PKT3_PT4_21rocsparse_index_base_b.uses_vcc, 1
	.set _ZN9rocsparseL23coomvn_aos_atomic_loopsILj256ELj1ElffffEEvlNS_24const_host_device_scalarIT5_EEPKT1_PKT2_PKT3_PT4_21rocsparse_index_base_b.uses_flat_scratch, 0
	.set _ZN9rocsparseL23coomvn_aos_atomic_loopsILj256ELj1ElffffEEvlNS_24const_host_device_scalarIT5_EEPKT1_PKT2_PKT3_PT4_21rocsparse_index_base_b.has_dyn_sized_stack, 0
	.set _ZN9rocsparseL23coomvn_aos_atomic_loopsILj256ELj1ElffffEEvlNS_24const_host_device_scalarIT5_EEPKT1_PKT2_PKT3_PT4_21rocsparse_index_base_b.has_recursion, 0
	.set _ZN9rocsparseL23coomvn_aos_atomic_loopsILj256ELj1ElffffEEvlNS_24const_host_device_scalarIT5_EEPKT1_PKT2_PKT3_PT4_21rocsparse_index_base_b.has_indirect_call, 0
	.section	.AMDGPU.csdata,"",@progbits
; Kernel info:
; codeLenInByte = 1256
; TotalNumSgprs: 20
; NumVgprs: 9
; ScratchSize: 0
; MemoryBound: 0
; FloatMode: 240
; IeeeMode: 1
; LDSByteSize: 3072 bytes/workgroup (compile time only)
; SGPRBlocks: 2
; VGPRBlocks: 2
; NumSGPRsForWavesPerEU: 20
; NumVGPRsForWavesPerEU: 9
; Occupancy: 10
; WaveLimiterHint : 1
; COMPUTE_PGM_RSRC2:SCRATCH_EN: 0
; COMPUTE_PGM_RSRC2:USER_SGPR: 6
; COMPUTE_PGM_RSRC2:TRAP_HANDLER: 0
; COMPUTE_PGM_RSRC2:TGID_X_EN: 1
; COMPUTE_PGM_RSRC2:TGID_Y_EN: 0
; COMPUTE_PGM_RSRC2:TGID_Z_EN: 0
; COMPUTE_PGM_RSRC2:TIDIG_COMP_CNT: 0
	.section	.text._ZN9rocsparseL17coomvt_aos_kernelILj1024ElffffEEv20rocsparse_operation_lNS_24const_host_device_scalarIT4_EEPKT0_PKT1_PKT2_PT3_21rocsparse_index_base_b,"axG",@progbits,_ZN9rocsparseL17coomvt_aos_kernelILj1024ElffffEEv20rocsparse_operation_lNS_24const_host_device_scalarIT4_EEPKT0_PKT1_PKT2_PT3_21rocsparse_index_base_b,comdat
	.globl	_ZN9rocsparseL17coomvt_aos_kernelILj1024ElffffEEv20rocsparse_operation_lNS_24const_host_device_scalarIT4_EEPKT0_PKT1_PKT2_PT3_21rocsparse_index_base_b ; -- Begin function _ZN9rocsparseL17coomvt_aos_kernelILj1024ElffffEEv20rocsparse_operation_lNS_24const_host_device_scalarIT4_EEPKT0_PKT1_PKT2_PT3_21rocsparse_index_base_b
	.p2align	8
	.type	_ZN9rocsparseL17coomvt_aos_kernelILj1024ElffffEEv20rocsparse_operation_lNS_24const_host_device_scalarIT4_EEPKT0_PKT1_PKT2_PT3_21rocsparse_index_base_b,@function
_ZN9rocsparseL17coomvt_aos_kernelILj1024ElffffEEv20rocsparse_operation_lNS_24const_host_device_scalarIT4_EEPKT0_PKT1_PKT2_PT3_21rocsparse_index_base_b: ; @_ZN9rocsparseL17coomvt_aos_kernelILj1024ElffffEEv20rocsparse_operation_lNS_24const_host_device_scalarIT4_EEPKT0_PKT1_PKT2_PT3_21rocsparse_index_base_b
; %bb.0:
	s_load_dwordx2 s[16:17], s[4:5], 0x38
	s_load_dwordx4 s[0:3], s[4:5], 0x8
	s_waitcnt lgkmcnt(0)
	s_bitcmp1_b32 s17, 0
	s_cselect_b64 s[8:9], -1, 0
	s_and_b64 vcc, exec, s[8:9]
	s_cbranch_vccnz .LBB5_2
; %bb.1:
	s_load_dword s2, s[2:3], 0x0
.LBB5_2:
	s_waitcnt lgkmcnt(0)
	v_cmp_eq_f32_e64 s[8:9], s2, 0
	s_and_b64 vcc, exec, s[8:9]
	s_cbranch_vccnz .LBB5_6
; %bb.3:
	s_load_dword s3, s[4:5], 0x4c
	v_mov_b32_e32 v1, 0
	s_waitcnt lgkmcnt(0)
	s_and_b32 s3, s3, 0xffff
	s_mul_i32 s6, s6, s3
	v_add_u32_e32 v0, s6, v0
	v_cmp_gt_i64_e32 vcc, s[0:1], v[0:1]
	s_and_saveexec_b64 s[0:1], vcc
	s_cbranch_execz .LBB5_6
; %bb.4:
	s_load_dwordx8 s[8:15], s[4:5], 0x18
	v_lshlrev_b64 v[2:3], 4, v[0:1]
	v_lshlrev_b64 v[0:1], 2, v[0:1]
	s_mov_b64 s[0:1], 0
	s_waitcnt lgkmcnt(0)
	v_mov_b32_e32 v4, s9
	v_add_co_u32_e32 v2, vcc, s8, v2
	v_addc_co_u32_e32 v3, vcc, v4, v3, vcc
	global_load_dwordx4 v[2:5], v[2:3], off
	v_mov_b32_e32 v6, s11
	v_add_co_u32_e32 v0, vcc, s10, v0
	v_addc_co_u32_e32 v1, vcc, v6, v1, vcc
	global_load_dword v6, v[0:1], off
	v_mov_b32_e32 v8, s13
	v_mov_b32_e32 v7, s15
	s_waitcnt vmcnt(1)
	v_subrev_co_u32_e32 v0, vcc, s16, v2
	v_subbrev_co_u32_e32 v1, vcc, 0, v3, vcc
	v_subrev_co_u32_e32 v2, vcc, s16, v4
	v_lshlrev_b64 v[0:1], 2, v[0:1]
	v_subbrev_co_u32_e32 v3, vcc, 0, v5, vcc
	v_lshlrev_b64 v[2:3], 2, v[2:3]
	v_add_co_u32_e32 v0, vcc, s12, v0
	v_addc_co_u32_e32 v1, vcc, v8, v1, vcc
	global_load_dword v4, v[0:1], off
	v_add_co_u32_e32 v0, vcc, s14, v2
	v_addc_co_u32_e32 v1, vcc, v7, v3, vcc
	global_load_dword v3, v[0:1], off
	s_waitcnt vmcnt(2)
	v_mul_f32_e32 v2, s2, v6
	s_waitcnt vmcnt(1)
	v_mul_f32_e32 v4, v2, v4
.LBB5_5:                                ; =>This Inner Loop Header: Depth=1
	s_waitcnt vmcnt(0)
	v_add_f32_e32 v2, v3, v4
	global_atomic_cmpswap v2, v[0:1], v[2:3], off glc
	s_waitcnt vmcnt(0)
	v_cmp_eq_u32_e32 vcc, v2, v3
	s_or_b64 s[0:1], vcc, s[0:1]
	v_mov_b32_e32 v3, v2
	s_andn2_b64 exec, exec, s[0:1]
	s_cbranch_execnz .LBB5_5
.LBB5_6:
	s_endpgm
	.section	.rodata,"a",@progbits
	.p2align	6, 0x0
	.amdhsa_kernel _ZN9rocsparseL17coomvt_aos_kernelILj1024ElffffEEv20rocsparse_operation_lNS_24const_host_device_scalarIT4_EEPKT0_PKT1_PKT2_PT3_21rocsparse_index_base_b
		.amdhsa_group_segment_fixed_size 0
		.amdhsa_private_segment_fixed_size 0
		.amdhsa_kernarg_size 320
		.amdhsa_user_sgpr_count 6
		.amdhsa_user_sgpr_private_segment_buffer 1
		.amdhsa_user_sgpr_dispatch_ptr 0
		.amdhsa_user_sgpr_queue_ptr 0
		.amdhsa_user_sgpr_kernarg_segment_ptr 1
		.amdhsa_user_sgpr_dispatch_id 0
		.amdhsa_user_sgpr_flat_scratch_init 0
		.amdhsa_user_sgpr_private_segment_size 0
		.amdhsa_uses_dynamic_stack 0
		.amdhsa_system_sgpr_private_segment_wavefront_offset 0
		.amdhsa_system_sgpr_workgroup_id_x 1
		.amdhsa_system_sgpr_workgroup_id_y 0
		.amdhsa_system_sgpr_workgroup_id_z 0
		.amdhsa_system_sgpr_workgroup_info 0
		.amdhsa_system_vgpr_workitem_id 0
		.amdhsa_next_free_vgpr 9
		.amdhsa_next_free_sgpr 18
		.amdhsa_reserve_vcc 1
		.amdhsa_reserve_flat_scratch 0
		.amdhsa_float_round_mode_32 0
		.amdhsa_float_round_mode_16_64 0
		.amdhsa_float_denorm_mode_32 3
		.amdhsa_float_denorm_mode_16_64 3
		.amdhsa_dx10_clamp 1
		.amdhsa_ieee_mode 1
		.amdhsa_fp16_overflow 0
		.amdhsa_exception_fp_ieee_invalid_op 0
		.amdhsa_exception_fp_denorm_src 0
		.amdhsa_exception_fp_ieee_div_zero 0
		.amdhsa_exception_fp_ieee_overflow 0
		.amdhsa_exception_fp_ieee_underflow 0
		.amdhsa_exception_fp_ieee_inexact 0
		.amdhsa_exception_int_div_zero 0
	.end_amdhsa_kernel
	.section	.text._ZN9rocsparseL17coomvt_aos_kernelILj1024ElffffEEv20rocsparse_operation_lNS_24const_host_device_scalarIT4_EEPKT0_PKT1_PKT2_PT3_21rocsparse_index_base_b,"axG",@progbits,_ZN9rocsparseL17coomvt_aos_kernelILj1024ElffffEEv20rocsparse_operation_lNS_24const_host_device_scalarIT4_EEPKT0_PKT1_PKT2_PT3_21rocsparse_index_base_b,comdat
.Lfunc_end5:
	.size	_ZN9rocsparseL17coomvt_aos_kernelILj1024ElffffEEv20rocsparse_operation_lNS_24const_host_device_scalarIT4_EEPKT0_PKT1_PKT2_PT3_21rocsparse_index_base_b, .Lfunc_end5-_ZN9rocsparseL17coomvt_aos_kernelILj1024ElffffEEv20rocsparse_operation_lNS_24const_host_device_scalarIT4_EEPKT0_PKT1_PKT2_PT3_21rocsparse_index_base_b
                                        ; -- End function
	.set _ZN9rocsparseL17coomvt_aos_kernelILj1024ElffffEEv20rocsparse_operation_lNS_24const_host_device_scalarIT4_EEPKT0_PKT1_PKT2_PT3_21rocsparse_index_base_b.num_vgpr, 9
	.set _ZN9rocsparseL17coomvt_aos_kernelILj1024ElffffEEv20rocsparse_operation_lNS_24const_host_device_scalarIT4_EEPKT0_PKT1_PKT2_PT3_21rocsparse_index_base_b.num_agpr, 0
	.set _ZN9rocsparseL17coomvt_aos_kernelILj1024ElffffEEv20rocsparse_operation_lNS_24const_host_device_scalarIT4_EEPKT0_PKT1_PKT2_PT3_21rocsparse_index_base_b.numbered_sgpr, 18
	.set _ZN9rocsparseL17coomvt_aos_kernelILj1024ElffffEEv20rocsparse_operation_lNS_24const_host_device_scalarIT4_EEPKT0_PKT1_PKT2_PT3_21rocsparse_index_base_b.num_named_barrier, 0
	.set _ZN9rocsparseL17coomvt_aos_kernelILj1024ElffffEEv20rocsparse_operation_lNS_24const_host_device_scalarIT4_EEPKT0_PKT1_PKT2_PT3_21rocsparse_index_base_b.private_seg_size, 0
	.set _ZN9rocsparseL17coomvt_aos_kernelILj1024ElffffEEv20rocsparse_operation_lNS_24const_host_device_scalarIT4_EEPKT0_PKT1_PKT2_PT3_21rocsparse_index_base_b.uses_vcc, 1
	.set _ZN9rocsparseL17coomvt_aos_kernelILj1024ElffffEEv20rocsparse_operation_lNS_24const_host_device_scalarIT4_EEPKT0_PKT1_PKT2_PT3_21rocsparse_index_base_b.uses_flat_scratch, 0
	.set _ZN9rocsparseL17coomvt_aos_kernelILj1024ElffffEEv20rocsparse_operation_lNS_24const_host_device_scalarIT4_EEPKT0_PKT1_PKT2_PT3_21rocsparse_index_base_b.has_dyn_sized_stack, 0
	.set _ZN9rocsparseL17coomvt_aos_kernelILj1024ElffffEEv20rocsparse_operation_lNS_24const_host_device_scalarIT4_EEPKT0_PKT1_PKT2_PT3_21rocsparse_index_base_b.has_recursion, 0
	.set _ZN9rocsparseL17coomvt_aos_kernelILj1024ElffffEEv20rocsparse_operation_lNS_24const_host_device_scalarIT4_EEPKT0_PKT1_PKT2_PT3_21rocsparse_index_base_b.has_indirect_call, 0
	.section	.AMDGPU.csdata,"",@progbits
; Kernel info:
; codeLenInByte = 316
; TotalNumSgprs: 22
; NumVgprs: 9
; ScratchSize: 0
; MemoryBound: 0
; FloatMode: 240
; IeeeMode: 1
; LDSByteSize: 0 bytes/workgroup (compile time only)
; SGPRBlocks: 2
; VGPRBlocks: 2
; NumSGPRsForWavesPerEU: 22
; NumVGPRsForWavesPerEU: 9
; Occupancy: 10
; WaveLimiterHint : 1
; COMPUTE_PGM_RSRC2:SCRATCH_EN: 0
; COMPUTE_PGM_RSRC2:USER_SGPR: 6
; COMPUTE_PGM_RSRC2:TRAP_HANDLER: 0
; COMPUTE_PGM_RSRC2:TGID_X_EN: 1
; COMPUTE_PGM_RSRC2:TGID_Y_EN: 0
; COMPUTE_PGM_RSRC2:TGID_Z_EN: 0
; COMPUTE_PGM_RSRC2:TIDIG_COMP_CNT: 0
	.section	.text._ZN9rocsparseL26coomvn_aos_segmented_loopsILj256ElffffEEvlT0_NS_24const_host_device_scalarIT4_EEPKS1_PKT1_PKT2_PT3_PS1_PS3_21rocsparse_index_base_b,"axG",@progbits,_ZN9rocsparseL26coomvn_aos_segmented_loopsILj256ElffffEEvlT0_NS_24const_host_device_scalarIT4_EEPKS1_PKT1_PKT2_PT3_PS1_PS3_21rocsparse_index_base_b,comdat
	.globl	_ZN9rocsparseL26coomvn_aos_segmented_loopsILj256ElffffEEvlT0_NS_24const_host_device_scalarIT4_EEPKS1_PKT1_PKT2_PT3_PS1_PS3_21rocsparse_index_base_b ; -- Begin function _ZN9rocsparseL26coomvn_aos_segmented_loopsILj256ElffffEEvlT0_NS_24const_host_device_scalarIT4_EEPKS1_PKT1_PKT2_PT3_PS1_PS3_21rocsparse_index_base_b
	.p2align	8
	.type	_ZN9rocsparseL26coomvn_aos_segmented_loopsILj256ElffffEEvlT0_NS_24const_host_device_scalarIT4_EEPKS1_PKT1_PKT2_PT3_PS1_PS3_21rocsparse_index_base_b,@function
_ZN9rocsparseL26coomvn_aos_segmented_loopsILj256ElffffEEvlT0_NS_24const_host_device_scalarIT4_EEPKS1_PKT1_PKT2_PT3_PS1_PS3_21rocsparse_index_base_b: ; @_ZN9rocsparseL26coomvn_aos_segmented_loopsILj256ElffffEEvlT0_NS_24const_host_device_scalarIT4_EEPKS1_PKT1_PKT2_PT3_PS1_PS3_21rocsparse_index_base_b
; %bb.0:
	s_load_dwordx2 s[40:41], s[4:5], 0x48
	s_load_dwordx2 s[34:35], s[4:5], 0x10
	s_waitcnt lgkmcnt(0)
	s_bitcmp1_b32 s41, 0
	s_cselect_b64 s[0:1], -1, 0
	s_and_b64 vcc, exec, s[0:1]
	s_cbranch_vccnz .LBB6_2
; %bb.1:
	s_load_dword s34, s[34:35], 0x0
.LBB6_2:
	s_waitcnt lgkmcnt(0)
	v_cmp_eq_f32_e64 s[0:1], s34, 0
	s_mov_b32 s7, 0
	s_and_b64 vcc, exec, s[0:1]
	s_cbranch_vccnz .LBB6_89
; %bb.3:
	s_load_dwordx4 s[28:31], s[4:5], 0x0
	s_load_dwordx4 s[36:39], s[4:5], 0x18
	s_load_dwordx2 s[46:47], s[4:5], 0x28
	v_mov_b32_e32 v1, -1
	v_mov_b32_e32 v2, -1
	s_waitcnt lgkmcnt(0)
	s_mul_i32 s1, s6, s31
	s_mul_hi_u32 s2, s6, s30
	s_mul_i32 s0, s6, s30
	s_add_i32 s1, s2, s1
	s_lshl_b64 s[0:1], s[0:1], 8
	v_or_b32_e32 v3, s0, v0
	v_mov_b32_e32 v4, s1
	v_cmp_gt_i64_e32 vcc, s[28:29], v[3:4]
	v_mov_b32_e32 v15, 0
	s_and_saveexec_b64 s[0:1], vcc
	s_cbranch_execz .LBB6_5
; %bb.4:
	v_lshlrev_b64 v[1:2], 4, v[3:4]
	v_mov_b32_e32 v5, s37
	v_add_co_u32_e32 v1, vcc, s36, v1
	v_addc_co_u32_e32 v2, vcc, v5, v2, vcc
	global_load_dwordx4 v[5:8], v[1:2], off glc slc
	v_lshlrev_b64 v[1:2], 2, v[3:4]
	v_mov_b32_e32 v9, s39
	v_add_co_u32_e32 v1, vcc, s38, v1
	v_addc_co_u32_e32 v2, vcc, v9, v2, vcc
	global_load_dword v11, v[1:2], off glc slc
	v_mov_b32_e32 v10, s47
	s_ashr_i32 s41, s40, 31
	s_lshl_b64 s[2:3], s[40:41], 2
	v_mov_b32_e32 v9, s3
	s_waitcnt vmcnt(1)
	v_lshlrev_b64 v[1:2], 2, v[7:8]
	v_add_co_u32_e32 v1, vcc, s46, v1
	v_addc_co_u32_e32 v2, vcc, v10, v2, vcc
	v_subrev_co_u32_e32 v1, vcc, s2, v1
	v_subb_co_u32_e32 v2, vcc, v2, v9, vcc
	global_load_dword v7, v[1:2], off
	v_subrev_co_u32_e32 v1, vcc, s40, v5
	v_subbrev_co_u32_e32 v2, vcc, 0, v6, vcc
	s_waitcnt vmcnt(0)
	v_mul_f32_e32 v15, v11, v7
.LBB6_5:
	s_or_b64 exec, exec, s[0:1]
	v_lshlrev_b32_e32 v11, 3, v0
	v_lshlrev_b32_e32 v6, 2, v0
	v_or_b32_e32 v12, 0x800, v6
	v_cmp_eq_u32_e64 s[0:1], 0, v0
	v_cmp_ne_u32_e64 s[2:3], 0, v0
	v_add_u32_e32 v13, -8, v11
	ds_write_b64 v11, v[1:2]
	ds_write_b32 v6, v15 offset:2048
	s_waitcnt lgkmcnt(0)
	s_barrier
	s_and_saveexec_b64 s[8:9], s[2:3]
	s_cbranch_execz .LBB6_9
; %bb.6:
	ds_read_b64 v[7:8], v13
	s_waitcnt lgkmcnt(0)
	v_cmp_eq_u64_e32 vcc, v[1:2], v[7:8]
	s_and_saveexec_b64 s[10:11], vcc
	s_cbranch_execz .LBB6_8
; %bb.7:
	v_add_u32_e32 v5, -4, v12
	ds_read_b32 v5, v5
	s_waitcnt lgkmcnt(0)
	v_add_f32_e32 v15, v15, v5
.LBB6_8:
	s_or_b64 exec, exec, s[10:11]
.LBB6_9:
	s_or_b64 exec, exec, s[8:9]
	v_cmp_lt_u32_e64 s[22:23], 1, v0
	v_add_u32_e32 v14, -16, v11
	s_barrier
	ds_write_b32 v12, v15
	s_waitcnt lgkmcnt(0)
	s_barrier
	s_and_saveexec_b64 s[8:9], s[22:23]
	s_cbranch_execz .LBB6_13
; %bb.10:
	ds_read_b64 v[7:8], v14
	s_waitcnt lgkmcnt(0)
	v_cmp_eq_u64_e32 vcc, v[1:2], v[7:8]
	s_and_saveexec_b64 s[10:11], vcc
	s_cbranch_execz .LBB6_12
; %bb.11:
	v_add_u32_e32 v5, -8, v12
	ds_read_b32 v5, v5
	s_waitcnt lgkmcnt(0)
	v_add_f32_e32 v15, v15, v5
.LBB6_12:
	s_or_b64 exec, exec, s[10:11]
.LBB6_13:
	s_or_b64 exec, exec, s[8:9]
	v_cmp_lt_u32_e64 s[8:9], 3, v0
	v_subrev_u32_e32 v16, 32, v11
	s_barrier
	ds_write_b32 v12, v15
	s_waitcnt lgkmcnt(0)
	s_barrier
	s_and_saveexec_b64 s[10:11], s[8:9]
	s_cbranch_execz .LBB6_17
; %bb.14:
	ds_read_b64 v[7:8], v16
	s_waitcnt lgkmcnt(0)
	v_cmp_eq_u64_e32 vcc, v[1:2], v[7:8]
	s_and_saveexec_b64 s[12:13], vcc
	s_cbranch_execz .LBB6_16
; %bb.15:
	v_add_u32_e32 v5, -16, v12
	ds_read_b32 v5, v5
	s_waitcnt lgkmcnt(0)
	v_add_f32_e32 v15, v15, v5
.LBB6_16:
	s_or_b64 exec, exec, s[12:13]
.LBB6_17:
	s_or_b64 exec, exec, s[10:11]
	v_cmp_lt_u32_e64 s[10:11], 7, v0
	v_subrev_u32_e32 v17, 64, v11
	s_barrier
	ds_write_b32 v12, v15
	s_waitcnt lgkmcnt(0)
	s_barrier
	s_and_saveexec_b64 s[12:13], s[10:11]
	s_cbranch_execz .LBB6_21
; %bb.18:
	ds_read_b64 v[7:8], v17
	s_waitcnt lgkmcnt(0)
	v_cmp_eq_u64_e32 vcc, v[1:2], v[7:8]
	s_and_saveexec_b64 s[14:15], vcc
	s_cbranch_execz .LBB6_20
; %bb.19:
	v_subrev_u32_e32 v5, 32, v12
	ds_read_b32 v5, v5
	s_waitcnt lgkmcnt(0)
	v_add_f32_e32 v15, v15, v5
.LBB6_20:
	s_or_b64 exec, exec, s[14:15]
.LBB6_21:
	s_or_b64 exec, exec, s[12:13]
	v_cmp_lt_u32_e64 s[12:13], 15, v0
	s_barrier
	ds_write_b32 v12, v15
	s_waitcnt lgkmcnt(0)
	s_barrier
	s_and_saveexec_b64 s[14:15], s[12:13]
	s_cbranch_execz .LBB6_25
; %bb.22:
	v_add_u32_e32 v5, 0xffffff80, v11
	ds_read_b64 v[7:8], v5
	s_waitcnt lgkmcnt(0)
	v_cmp_eq_u64_e32 vcc, v[1:2], v[7:8]
	s_and_saveexec_b64 s[16:17], vcc
	s_cbranch_execz .LBB6_24
; %bb.23:
	v_subrev_u32_e32 v5, 64, v12
	ds_read_b32 v5, v5
	s_waitcnt lgkmcnt(0)
	v_add_f32_e32 v15, v15, v5
.LBB6_24:
	s_or_b64 exec, exec, s[16:17]
.LBB6_25:
	s_or_b64 exec, exec, s[14:15]
	v_cmp_lt_u32_e64 s[14:15], 31, v0
	s_barrier
	ds_write_b32 v12, v15
	s_waitcnt lgkmcnt(0)
	s_barrier
	s_and_saveexec_b64 s[16:17], s[14:15]
	s_cbranch_execz .LBB6_29
; %bb.26:
	v_add_u32_e32 v5, 0xffffff00, v11
	ds_read_b64 v[7:8], v5
	s_waitcnt lgkmcnt(0)
	v_cmp_eq_u64_e32 vcc, v[1:2], v[7:8]
	s_and_saveexec_b64 s[18:19], vcc
	s_cbranch_execz .LBB6_28
; %bb.27:
	v_add_u32_e32 v5, 0xffffff80, v12
	ds_read_b32 v5, v5
	s_waitcnt lgkmcnt(0)
	v_add_f32_e32 v15, v15, v5
.LBB6_28:
	s_or_b64 exec, exec, s[18:19]
.LBB6_29:
	s_or_b64 exec, exec, s[16:17]
	v_cmp_lt_u32_e64 s[16:17], 63, v0
	s_barrier
	ds_write_b32 v12, v15
	s_waitcnt lgkmcnt(0)
	s_barrier
	s_and_saveexec_b64 s[18:19], s[16:17]
	s_cbranch_execz .LBB6_33
; %bb.30:
	v_add_u32_e32 v5, 0xfffffe00, v11
	ds_read_b64 v[7:8], v5
	s_waitcnt lgkmcnt(0)
	v_cmp_eq_u64_e32 vcc, v[1:2], v[7:8]
	s_and_saveexec_b64 s[20:21], vcc
	s_cbranch_execz .LBB6_32
; %bb.31:
	v_add_u32_e32 v5, 0xffffff00, v12
	ds_read_b32 v5, v5
	s_waitcnt lgkmcnt(0)
	v_add_f32_e32 v15, v15, v5
.LBB6_32:
	s_or_b64 exec, exec, s[20:21]
.LBB6_33:
	s_or_b64 exec, exec, s[18:19]
	s_load_dwordx2 s[42:43], s[4:5], 0x30
	s_movk_i32 s18, 0x7f
	v_cmp_lt_u32_e64 s[18:19], s18, v0
	s_waitcnt lgkmcnt(0)
	s_barrier
	ds_write_b32 v12, v15
	s_waitcnt lgkmcnt(0)
	s_barrier
	s_and_saveexec_b64 s[20:21], s[18:19]
	s_cbranch_execz .LBB6_37
; %bb.34:
	v_add_u32_e32 v5, 0xfffffc00, v11
	ds_read_b64 v[7:8], v5
	s_waitcnt lgkmcnt(0)
	v_cmp_eq_u64_e32 vcc, v[1:2], v[7:8]
	s_and_saveexec_b64 s[24:25], vcc
	s_cbranch_execz .LBB6_36
; %bb.35:
	v_add_u32_e32 v5, 0xfffffe00, v12
	ds_read_b32 v5, v5
	s_waitcnt lgkmcnt(0)
	v_add_f32_e32 v15, v15, v5
.LBB6_36:
	s_or_b64 exec, exec, s[24:25]
.LBB6_37:
	s_or_b64 exec, exec, s[20:21]
	s_movk_i32 s20, 0xff
	v_cmp_gt_u32_e64 s[20:21], s20, v0
	s_barrier
	ds_write_b32 v12, v15
	s_waitcnt lgkmcnt(0)
	s_barrier
	s_and_saveexec_b64 s[26:27], s[20:21]
	s_cbranch_execz .LBB6_40
; %bb.38:
	ds_read_b64 v[7:8], v11 offset:8
	v_cmp_lt_i64_e64 s[24:25], -1, v[1:2]
	s_waitcnt lgkmcnt(0)
	v_cmp_ne_u64_e32 vcc, v[1:2], v[7:8]
	s_and_b64 s[24:25], s[24:25], vcc
	s_and_b64 exec, exec, s[24:25]
	s_cbranch_execz .LBB6_40
; %bb.39:
	v_lshlrev_b64 v[7:8], 2, v[1:2]
	v_mov_b32_e32 v5, s43
	v_add_co_u32_e32 v7, vcc, s42, v7
	v_addc_co_u32_e32 v8, vcc, v5, v8, vcc
	global_load_dword v5, v[7:8], off
	s_waitcnt vmcnt(0)
	v_fmac_f32_e32 v5, s34, v15
	global_store_dword v[7:8], v5, off
.LBB6_40:
	s_or_b64 exec, exec, s[26:27]
	s_load_dwordx4 s[24:27], s[4:5], 0x38
	v_cmp_lt_i64_e64 s[4:5], s[30:31], 2
	s_and_b64 vcc, exec, s[4:5]
	s_cbranch_vccnz .LBB6_87
; %bb.41:
	s_add_u32 s44, s30, -1
	s_addc_u32 s45, s31, -1
	s_ashr_i32 s41, s40, 31
	s_lshl_b64 s[4:5], s[40:41], 2
	s_sub_u32 s33, s46, s4
	s_subb_u32 s35, s47, s5
	s_mul_i32 s4, s31, s6
	s_mul_hi_u32 s5, s30, s6
	s_add_i32 s5, s5, s4
	s_mul_i32 s4, s30, s6
	s_lshl_b64 s[30:31], s[4:5], 10
	s_add_u32 s30, s38, s30
	s_addc_u32 s31, s39, s31
	s_lshl_b64 s[4:5], s[4:5], 12
	s_add_u32 s4, s36, s4
	v_lshlrev_b32_e32 v1, 4, v0
	s_addc_u32 s5, s37, s5
	v_mov_b32_e32 v2, s5
	v_add_co_u32_e32 v1, vcc, s4, v1
	v_addc_co_u32_e32 v2, vcc, 0, v2, vcc
	s_movk_i32 s4, 0x1008
	v_add_co_u32_e32 v5, vcc, s4, v1
	s_movk_i32 s36, 0x100
	s_mov_b64 s[4:5], vcc
	v_add_co_u32_e32 v3, vcc, s36, v3
	v_addc_co_u32_e32 v4, vcc, 0, v4, vcc
	v_mov_b32_e32 v1, s31
	v_add_co_u32_e32 v6, vcc, s30, v6
	v_addc_co_u32_e32 v1, vcc, 0, v1, vcc
	s_movk_i32 s30, 0x400
	v_add_co_u32_e32 v7, vcc, s30, v6
	v_add_u32_e32 v18, -16, v12
	v_subrev_u32_e32 v19, 32, v12
	v_add_u32_e32 v20, 0xffffff80, v11
	v_subrev_u32_e32 v21, 64, v12
	v_add_u32_e32 v22, 0xffffff00, v11
	v_add_u32_e32 v23, 0xffffff80, v12
	;; [unrolled: 1-line block ×3, first 2 shown]
	v_addc_co_u32_e32 v8, vcc, 0, v1, vcc
	v_add_u32_e32 v25, 0xffffff00, v12
	v_addc_co_u32_e64 v6, vcc, 0, v2, s[4:5]
	v_add_u32_e32 v26, 0xfffffc00, v11
	s_mov_b64 s[30:31], 0
	v_add_u32_e32 v27, 0xfffffe00, v12
	v_mov_b32_e32 v28, 0
	s_branch .LBB6_43
.LBB6_42:                               ;   in Loop: Header=BB6_43 Depth=1
	s_or_b64 exec, exec, s[36:37]
	v_add_co_u32_e32 v7, vcc, 0x400, v7
	v_addc_co_u32_e32 v8, vcc, 0, v8, vcc
	s_add_u32 s30, s30, 1
	v_add_co_u32_e32 v5, vcc, 0x1000, v5
	s_addc_u32 s31, s31, 0
	v_mov_b32_e32 v9, s30
	v_addc_co_u32_e32 v6, vcc, 0, v6, vcc
	v_mov_b32_e32 v10, s31
	v_add_co_u32_e32 v3, vcc, 0x100, v3
	v_cmp_le_u64_e64 s[4:5], s[44:45], v[9:10]
	v_addc_co_u32_e32 v4, vcc, 0, v4, vcc
	s_and_b64 vcc, exec, s[4:5]
	s_cbranch_vccnz .LBB6_87
.LBB6_43:                               ; =>This Inner Loop Header: Depth=1
	v_cmp_gt_i64_e32 vcc, s[28:29], v[3:4]
	v_mov_b32_e32 v1, -1
	v_mov_b32_e32 v2, -1
	v_mov_b32_e32 v15, 0
	s_and_saveexec_b64 s[4:5], vcc
	s_cbranch_execz .LBB6_45
; %bb.44:                               ;   in Loop: Header=BB6_43 Depth=1
	global_load_dwordx4 v[29:32], v[5:6], off offset:-8 glc slc
	global_load_dword v9, v[7:8], off glc slc
	v_mov_b32_e32 v10, s35
	s_waitcnt vmcnt(1)
	v_lshlrev_b64 v[1:2], 2, v[31:32]
	v_add_co_u32_e32 v1, vcc, s33, v1
	v_addc_co_u32_e32 v2, vcc, v10, v2, vcc
	global_load_dword v10, v[1:2], off
	v_subrev_co_u32_e32 v1, vcc, s40, v29
	v_subbrev_co_u32_e32 v2, vcc, 0, v30, vcc
	s_waitcnt vmcnt(0)
	v_mul_f32_e32 v15, v9, v10
.LBB6_45:                               ;   in Loop: Header=BB6_43 Depth=1
	s_or_b64 exec, exec, s[4:5]
	s_and_saveexec_b64 s[4:5], s[0:1]
	s_cbranch_execz .LBB6_52
; %bb.46:                               ;   in Loop: Header=BB6_43 Depth=1
	ds_read_b64 v[9:10], v28 offset:2040
	s_waitcnt lgkmcnt(0)
	v_cmp_ne_u64_e32 vcc, v[1:2], v[9:10]
	s_and_saveexec_b64 s[36:37], vcc
	s_xor_b64 s[36:37], exec, s[36:37]
	s_cbranch_execz .LBB6_49
; %bb.47:                               ;   in Loop: Header=BB6_43 Depth=1
	v_cmp_gt_i64_e32 vcc, 0, v[9:10]
	s_cbranch_vccnz .LBB6_49
; %bb.48:                               ;   in Loop: Header=BB6_43 Depth=1
	v_lshlrev_b64 v[9:10], 2, v[9:10]
	v_mov_b32_e32 v29, s43
	v_add_co_u32_e32 v9, vcc, s42, v9
	v_addc_co_u32_e32 v10, vcc, v29, v10, vcc
	global_load_dword v29, v[9:10], off
	ds_read_b32 v30, v28 offset:3068
	s_waitcnt vmcnt(0) lgkmcnt(0)
	v_fmac_f32_e32 v29, s34, v30
	global_store_dword v[9:10], v29, off
.LBB6_49:                               ;   in Loop: Header=BB6_43 Depth=1
	s_andn2_saveexec_b64 s[36:37], s[36:37]
	s_cbranch_execz .LBB6_51
; %bb.50:                               ;   in Loop: Header=BB6_43 Depth=1
	ds_read_b32 v9, v28 offset:3068
	s_waitcnt lgkmcnt(0)
	v_add_f32_e32 v15, v15, v9
.LBB6_51:                               ;   in Loop: Header=BB6_43 Depth=1
	s_or_b64 exec, exec, s[36:37]
.LBB6_52:                               ;   in Loop: Header=BB6_43 Depth=1
	s_or_b64 exec, exec, s[4:5]
	s_waitcnt vmcnt(0) lgkmcnt(0)
	s_barrier
	ds_write_b64 v11, v[1:2]
	ds_write_b32 v12, v15
	s_waitcnt lgkmcnt(0)
	s_barrier
	s_and_saveexec_b64 s[4:5], s[2:3]
	s_cbranch_execz .LBB6_56
; %bb.53:                               ;   in Loop: Header=BB6_43 Depth=1
	ds_read_b64 v[9:10], v13
	s_waitcnt lgkmcnt(0)
	v_cmp_eq_u64_e32 vcc, v[1:2], v[9:10]
	s_and_saveexec_b64 s[36:37], vcc
	s_cbranch_execz .LBB6_55
; %bb.54:                               ;   in Loop: Header=BB6_43 Depth=1
	v_add_u32_e32 v9, -4, v12
	ds_read_b32 v9, v9
	s_waitcnt lgkmcnt(0)
	v_add_f32_e32 v15, v15, v9
.LBB6_55:                               ;   in Loop: Header=BB6_43 Depth=1
	s_or_b64 exec, exec, s[36:37]
.LBB6_56:                               ;   in Loop: Header=BB6_43 Depth=1
	s_or_b64 exec, exec, s[4:5]
	s_barrier
	ds_write_b32 v12, v15
	s_waitcnt lgkmcnt(0)
	s_barrier
	s_and_saveexec_b64 s[4:5], s[22:23]
	s_cbranch_execz .LBB6_60
; %bb.57:                               ;   in Loop: Header=BB6_43 Depth=1
	ds_read_b64 v[9:10], v14
	s_waitcnt lgkmcnt(0)
	v_cmp_eq_u64_e32 vcc, v[1:2], v[9:10]
	s_and_saveexec_b64 s[36:37], vcc
	s_cbranch_execz .LBB6_59
; %bb.58:                               ;   in Loop: Header=BB6_43 Depth=1
	v_add_u32_e32 v9, -8, v12
	ds_read_b32 v9, v9
	s_waitcnt lgkmcnt(0)
	v_add_f32_e32 v15, v15, v9
.LBB6_59:                               ;   in Loop: Header=BB6_43 Depth=1
	s_or_b64 exec, exec, s[36:37]
.LBB6_60:                               ;   in Loop: Header=BB6_43 Depth=1
	s_or_b64 exec, exec, s[4:5]
	s_barrier
	ds_write_b32 v12, v15
	s_waitcnt lgkmcnt(0)
	s_barrier
	s_and_saveexec_b64 s[4:5], s[8:9]
	s_cbranch_execz .LBB6_64
; %bb.61:                               ;   in Loop: Header=BB6_43 Depth=1
	ds_read_b64 v[9:10], v16
	s_waitcnt lgkmcnt(0)
	v_cmp_eq_u64_e32 vcc, v[1:2], v[9:10]
	s_and_saveexec_b64 s[36:37], vcc
	s_cbranch_execz .LBB6_63
; %bb.62:                               ;   in Loop: Header=BB6_43 Depth=1
	ds_read_b32 v9, v18
	s_waitcnt lgkmcnt(0)
	v_add_f32_e32 v15, v15, v9
.LBB6_63:                               ;   in Loop: Header=BB6_43 Depth=1
	s_or_b64 exec, exec, s[36:37]
.LBB6_64:                               ;   in Loop: Header=BB6_43 Depth=1
	s_or_b64 exec, exec, s[4:5]
	s_barrier
	ds_write_b32 v12, v15
	s_waitcnt lgkmcnt(0)
	s_barrier
	s_and_saveexec_b64 s[4:5], s[10:11]
	s_cbranch_execz .LBB6_68
; %bb.65:                               ;   in Loop: Header=BB6_43 Depth=1
	ds_read_b64 v[9:10], v17
	s_waitcnt lgkmcnt(0)
	v_cmp_eq_u64_e32 vcc, v[1:2], v[9:10]
	s_and_saveexec_b64 s[36:37], vcc
	s_cbranch_execz .LBB6_67
; %bb.66:                               ;   in Loop: Header=BB6_43 Depth=1
	ds_read_b32 v9, v19
	s_waitcnt lgkmcnt(0)
	v_add_f32_e32 v15, v15, v9
.LBB6_67:                               ;   in Loop: Header=BB6_43 Depth=1
	s_or_b64 exec, exec, s[36:37]
.LBB6_68:                               ;   in Loop: Header=BB6_43 Depth=1
	;; [unrolled: 20-line block ×6, first 2 shown]
	s_or_b64 exec, exec, s[4:5]
	s_barrier
	ds_write_b32 v12, v15
	s_waitcnt lgkmcnt(0)
	s_barrier
	s_and_saveexec_b64 s[36:37], s[20:21]
	s_cbranch_execz .LBB6_42
; %bb.85:                               ;   in Loop: Header=BB6_43 Depth=1
	ds_read_b64 v[9:10], v11 offset:8
	v_cmp_lt_i64_e64 s[4:5], -1, v[1:2]
	s_waitcnt lgkmcnt(0)
	v_cmp_ne_u64_e32 vcc, v[1:2], v[9:10]
	s_and_b64 s[4:5], s[4:5], vcc
	s_and_b64 exec, exec, s[4:5]
	s_cbranch_execz .LBB6_42
; %bb.86:                               ;   in Loop: Header=BB6_43 Depth=1
	v_lshlrev_b64 v[9:10], 2, v[1:2]
	v_mov_b32_e32 v29, s43
	v_add_co_u32_e32 v9, vcc, s42, v9
	v_addc_co_u32_e32 v10, vcc, v29, v10, vcc
	global_load_dword v29, v[9:10], off
	s_waitcnt vmcnt(0)
	v_fmac_f32_e32 v29, s34, v15
	global_store_dword v[9:10], v29, off
	s_branch .LBB6_42
.LBB6_87:
	s_movk_i32 s0, 0xff
	v_cmp_eq_u32_e32 vcc, s0, v0
	s_and_saveexec_b64 s[0:1], vcc
	s_cbranch_execz .LBB6_89
; %bb.88:
	s_lshl_b64 s[0:1], s[6:7], 3
	s_waitcnt lgkmcnt(0)
	s_add_u32 s0, s24, s0
	s_addc_u32 s1, s25, s1
	s_lshl_b64 s[2:3], s[6:7], 2
	v_mov_b32_e32 v0, 0
	s_add_u32 s2, s26, s2
	v_mul_f32_e32 v3, s34, v15
	s_addc_u32 s3, s27, s3
	global_store_dwordx2 v0, v[1:2], s[0:1] glc slc
	global_store_dword v0, v3, s[2:3] glc slc
.LBB6_89:
	s_endpgm
	.section	.rodata,"a",@progbits
	.p2align	6, 0x0
	.amdhsa_kernel _ZN9rocsparseL26coomvn_aos_segmented_loopsILj256ElffffEEvlT0_NS_24const_host_device_scalarIT4_EEPKS1_PKT1_PKT2_PT3_PS1_PS3_21rocsparse_index_base_b
		.amdhsa_group_segment_fixed_size 3072
		.amdhsa_private_segment_fixed_size 0
		.amdhsa_kernarg_size 80
		.amdhsa_user_sgpr_count 6
		.amdhsa_user_sgpr_private_segment_buffer 1
		.amdhsa_user_sgpr_dispatch_ptr 0
		.amdhsa_user_sgpr_queue_ptr 0
		.amdhsa_user_sgpr_kernarg_segment_ptr 1
		.amdhsa_user_sgpr_dispatch_id 0
		.amdhsa_user_sgpr_flat_scratch_init 0
		.amdhsa_user_sgpr_private_segment_size 0
		.amdhsa_uses_dynamic_stack 0
		.amdhsa_system_sgpr_private_segment_wavefront_offset 0
		.amdhsa_system_sgpr_workgroup_id_x 1
		.amdhsa_system_sgpr_workgroup_id_y 0
		.amdhsa_system_sgpr_workgroup_id_z 0
		.amdhsa_system_sgpr_workgroup_info 0
		.amdhsa_system_vgpr_workitem_id 0
		.amdhsa_next_free_vgpr 33
		.amdhsa_next_free_sgpr 48
		.amdhsa_reserve_vcc 1
		.amdhsa_reserve_flat_scratch 0
		.amdhsa_float_round_mode_32 0
		.amdhsa_float_round_mode_16_64 0
		.amdhsa_float_denorm_mode_32 3
		.amdhsa_float_denorm_mode_16_64 3
		.amdhsa_dx10_clamp 1
		.amdhsa_ieee_mode 1
		.amdhsa_fp16_overflow 0
		.amdhsa_exception_fp_ieee_invalid_op 0
		.amdhsa_exception_fp_denorm_src 0
		.amdhsa_exception_fp_ieee_div_zero 0
		.amdhsa_exception_fp_ieee_overflow 0
		.amdhsa_exception_fp_ieee_underflow 0
		.amdhsa_exception_fp_ieee_inexact 0
		.amdhsa_exception_int_div_zero 0
	.end_amdhsa_kernel
	.section	.text._ZN9rocsparseL26coomvn_aos_segmented_loopsILj256ElffffEEvlT0_NS_24const_host_device_scalarIT4_EEPKS1_PKT1_PKT2_PT3_PS1_PS3_21rocsparse_index_base_b,"axG",@progbits,_ZN9rocsparseL26coomvn_aos_segmented_loopsILj256ElffffEEvlT0_NS_24const_host_device_scalarIT4_EEPKS1_PKT1_PKT2_PT3_PS1_PS3_21rocsparse_index_base_b,comdat
.Lfunc_end6:
	.size	_ZN9rocsparseL26coomvn_aos_segmented_loopsILj256ElffffEEvlT0_NS_24const_host_device_scalarIT4_EEPKS1_PKT1_PKT2_PT3_PS1_PS3_21rocsparse_index_base_b, .Lfunc_end6-_ZN9rocsparseL26coomvn_aos_segmented_loopsILj256ElffffEEvlT0_NS_24const_host_device_scalarIT4_EEPKS1_PKT1_PKT2_PT3_PS1_PS3_21rocsparse_index_base_b
                                        ; -- End function
	.set _ZN9rocsparseL26coomvn_aos_segmented_loopsILj256ElffffEEvlT0_NS_24const_host_device_scalarIT4_EEPKS1_PKT1_PKT2_PT3_PS1_PS3_21rocsparse_index_base_b.num_vgpr, 33
	.set _ZN9rocsparseL26coomvn_aos_segmented_loopsILj256ElffffEEvlT0_NS_24const_host_device_scalarIT4_EEPKS1_PKT1_PKT2_PT3_PS1_PS3_21rocsparse_index_base_b.num_agpr, 0
	.set _ZN9rocsparseL26coomvn_aos_segmented_loopsILj256ElffffEEvlT0_NS_24const_host_device_scalarIT4_EEPKS1_PKT1_PKT2_PT3_PS1_PS3_21rocsparse_index_base_b.numbered_sgpr, 48
	.set _ZN9rocsparseL26coomvn_aos_segmented_loopsILj256ElffffEEvlT0_NS_24const_host_device_scalarIT4_EEPKS1_PKT1_PKT2_PT3_PS1_PS3_21rocsparse_index_base_b.num_named_barrier, 0
	.set _ZN9rocsparseL26coomvn_aos_segmented_loopsILj256ElffffEEvlT0_NS_24const_host_device_scalarIT4_EEPKS1_PKT1_PKT2_PT3_PS1_PS3_21rocsparse_index_base_b.private_seg_size, 0
	.set _ZN9rocsparseL26coomvn_aos_segmented_loopsILj256ElffffEEvlT0_NS_24const_host_device_scalarIT4_EEPKS1_PKT1_PKT2_PT3_PS1_PS3_21rocsparse_index_base_b.uses_vcc, 1
	.set _ZN9rocsparseL26coomvn_aos_segmented_loopsILj256ElffffEEvlT0_NS_24const_host_device_scalarIT4_EEPKS1_PKT1_PKT2_PT3_PS1_PS3_21rocsparse_index_base_b.uses_flat_scratch, 0
	.set _ZN9rocsparseL26coomvn_aos_segmented_loopsILj256ElffffEEvlT0_NS_24const_host_device_scalarIT4_EEPKS1_PKT1_PKT2_PT3_PS1_PS3_21rocsparse_index_base_b.has_dyn_sized_stack, 0
	.set _ZN9rocsparseL26coomvn_aos_segmented_loopsILj256ElffffEEvlT0_NS_24const_host_device_scalarIT4_EEPKS1_PKT1_PKT2_PT3_PS1_PS3_21rocsparse_index_base_b.has_recursion, 0
	.set _ZN9rocsparseL26coomvn_aos_segmented_loopsILj256ElffffEEvlT0_NS_24const_host_device_scalarIT4_EEPKS1_PKT1_PKT2_PT3_PS1_PS3_21rocsparse_index_base_b.has_indirect_call, 0
	.section	.AMDGPU.csdata,"",@progbits
; Kernel info:
; codeLenInByte = 2552
; TotalNumSgprs: 52
; NumVgprs: 33
; ScratchSize: 0
; MemoryBound: 1
; FloatMode: 240
; IeeeMode: 1
; LDSByteSize: 3072 bytes/workgroup (compile time only)
; SGPRBlocks: 6
; VGPRBlocks: 8
; NumSGPRsForWavesPerEU: 52
; NumVGPRsForWavesPerEU: 33
; Occupancy: 7
; WaveLimiterHint : 1
; COMPUTE_PGM_RSRC2:SCRATCH_EN: 0
; COMPUTE_PGM_RSRC2:USER_SGPR: 6
; COMPUTE_PGM_RSRC2:TRAP_HANDLER: 0
; COMPUTE_PGM_RSRC2:TGID_X_EN: 1
; COMPUTE_PGM_RSRC2:TGID_Y_EN: 0
; COMPUTE_PGM_RSRC2:TGID_Z_EN: 0
; COMPUTE_PGM_RSRC2:TIDIG_COMP_CNT: 0
	.section	.text._ZN9rocsparseL29coomvn_segmented_loops_reduceILj256ElffEEvT0_NS_24const_host_device_scalarIT2_EEPKS1_PKS3_PT1_b,"axG",@progbits,_ZN9rocsparseL29coomvn_segmented_loops_reduceILj256ElffEEvT0_NS_24const_host_device_scalarIT2_EEPKS1_PKS3_PT1_b,comdat
	.globl	_ZN9rocsparseL29coomvn_segmented_loops_reduceILj256ElffEEvT0_NS_24const_host_device_scalarIT2_EEPKS1_PKS3_PT1_b ; -- Begin function _ZN9rocsparseL29coomvn_segmented_loops_reduceILj256ElffEEvT0_NS_24const_host_device_scalarIT2_EEPKS1_PKS3_PT1_b
	.p2align	8
	.type	_ZN9rocsparseL29coomvn_segmented_loops_reduceILj256ElffEEvT0_NS_24const_host_device_scalarIT2_EEPKS1_PKS3_PT1_b,@function
_ZN9rocsparseL29coomvn_segmented_loops_reduceILj256ElffEEvT0_NS_24const_host_device_scalarIT2_EEPKS1_PKS3_PT1_b: ; @_ZN9rocsparseL29coomvn_segmented_loops_reduceILj256ElffEEvT0_NS_24const_host_device_scalarIT2_EEPKS1_PKS3_PT1_b
; %bb.0:
	s_load_dword s0, s[4:5], 0x28
	s_load_dwordx4 s[8:11], s[4:5], 0x0
	s_waitcnt lgkmcnt(0)
	s_bitcmp1_b32 s0, 0
	s_cselect_b64 s[0:1], -1, 0
	s_and_b64 vcc, exec, s[0:1]
	s_cbranch_vccnz .LBB7_2
; %bb.1:
	s_load_dword s10, s[10:11], 0x0
.LBB7_2:
	s_waitcnt lgkmcnt(0)
	v_cmp_eq_f32_e64 s[0:1], s10, 0
	s_and_b64 vcc, exec, s[0:1]
	s_cbranch_vccnz .LBB7_44
; %bb.3:
	v_cmp_lt_i64_e64 s[0:1], s[8:9], 1
	s_and_b64 vcc, exec, s[0:1]
	s_cbranch_vccnz .LBB7_44
; %bb.4:
	v_subrev_co_u32_e32 v2, vcc, 1, v0
	v_mov_b32_e32 v3, 0x800
	s_xor_b64 s[10:11], vcc, -1
	v_lshl_add_u32 v11, v2, 2, v3
	v_subrev_co_u32_e32 v2, vcc, 2, v0
	s_xor_b64 s[16:17], vcc, -1
	v_lshl_add_u32 v12, v2, 2, v3
	v_subrev_co_u32_e32 v2, vcc, 4, v0
	;; [unrolled: 3-line block ×3, first 2 shown]
	s_load_dwordx4 s[12:15], s[4:5], 0x10
	s_load_dwordx2 s[6:7], s[4:5], 0x20
	s_xor_b64 s[20:21], vcc, -1
	v_lshl_add_u32 v14, v2, 2, v3
	v_subrev_co_u32_e32 v2, vcc, 16, v0
	s_xor_b64 s[22:23], vcc, -1
	v_lshl_add_u32 v15, v2, 2, v3
	v_subrev_co_u32_e32 v2, vcc, 32, v0
	v_lshl_add_u32 v16, v2, 2, v3
	v_subrev_co_u32_e64 v2, s[0:1], 64, v0
	s_movk_i32 s2, 0x80
	v_lshlrev_b32_e32 v1, 2, v0
	v_lshl_add_u32 v17, v2, 2, v3
	v_subrev_co_u32_e64 v2, s[2:3], s2, v0
	v_or_b32_e32 v10, 0x800, v1
	v_lshl_add_u32 v18, v2, 2, v3
	s_waitcnt lgkmcnt(0)
	v_mov_b32_e32 v2, s15
	v_add_co_u32_e64 v1, s[4:5], s14, v1
	v_lshlrev_b32_e32 v9, 3, v0
	v_addc_co_u32_e64 v2, s[4:5], 0, v2, s[4:5]
	v_mov_b32_e32 v4, s13
	v_add_co_u32_e64 v3, s[4:5], s12, v9
	v_addc_co_u32_e64 v4, s[4:5], 0, v4, s[4:5]
	s_xor_b64 s[12:13], s[0:1], -1
	s_movk_i32 s0, 0xff
	v_add_u32_e32 v19, 0xffffff80, v9
	s_xor_b64 s[4:5], vcc, -1
	s_xor_b64 s[14:15], s[2:3], -1
	v_cmp_gt_u32_e64 s[0:1], s0, v0
	s_mov_b64 s[24:25], 0
	v_add_u32_e32 v20, 0xffffff00, v9
	v_add_u32_e32 v21, 0xfffffe00, v9
	;; [unrolled: 1-line block ×3, first 2 shown]
	v_add_u32_e32 v23, -8, v9
	v_add_u32_e32 v24, -16, v9
	v_subrev_u32_e32 v25, 32, v9
	v_subrev_u32_e32 v26, 64, v9
	s_branch .LBB7_6
.LBB7_5:                                ;   in Loop: Header=BB7_6 Depth=1
	s_or_b64 exec, exec, s[2:3]
	s_add_u32 s24, s24, 0x100
	v_add_co_u32_e32 v1, vcc, 0x400, v1
	v_mov_b32_e32 v5, s8
	s_addc_u32 s25, s25, 0
	v_addc_co_u32_e32 v2, vcc, 0, v2, vcc
	v_mov_b32_e32 v6, s9
	v_add_co_u32_e32 v3, vcc, 0x800, v3
	v_cmp_lt_i64_e64 s[2:3], s[24:25], v[5:6]
	v_addc_co_u32_e32 v4, vcc, 0, v4, vcc
	s_and_b64 vcc, exec, s[2:3]
	s_waitcnt vmcnt(0)
	s_barrier
	s_cbranch_vccz .LBB7_44
.LBB7_6:                                ; =>This Inner Loop Header: Depth=1
	v_mov_b32_e32 v6, s25
	v_add_co_u32_e32 v5, vcc, s24, v0
	v_addc_co_u32_e32 v6, vcc, 0, v6, vcc
	v_cmp_gt_i64_e32 vcc, s[8:9], v[5:6]
	v_mov_b32_e32 v5, -1
	v_mov_b32_e32 v6, -1
	v_mov_b32_e32 v7, 0
	s_and_saveexec_b64 s[2:3], vcc
	s_cbranch_execz .LBB7_8
; %bb.7:                                ;   in Loop: Header=BB7_6 Depth=1
	global_load_dwordx2 v[5:6], v[3:4], off
	global_load_dword v7, v[1:2], off
.LBB7_8:                                ;   in Loop: Header=BB7_6 Depth=1
	s_or_b64 exec, exec, s[2:3]
	s_waitcnt vmcnt(1)
	ds_write_b64 v9, v[5:6]
	s_waitcnt vmcnt(0)
	ds_write_b32 v10, v7
	v_mov_b32_e32 v5, 0
	v_mov_b32_e32 v6, 0
	s_waitcnt lgkmcnt(0)
	s_barrier
	s_and_saveexec_b64 s[2:3], s[10:11]
	s_cbranch_execz .LBB7_12
; %bb.9:                                ;   in Loop: Header=BB7_6 Depth=1
	ds_read2_b64 v[27:30], v23 offset1:1
	v_mov_b32_e32 v6, 0
	s_waitcnt lgkmcnt(0)
	v_cmp_eq_u64_e32 vcc, v[29:30], v[27:28]
	s_and_saveexec_b64 s[26:27], vcc
; %bb.10:                               ;   in Loop: Header=BB7_6 Depth=1
	ds_read_b32 v6, v11
; %bb.11:                               ;   in Loop: Header=BB7_6 Depth=1
	s_or_b64 exec, exec, s[26:27]
.LBB7_12:                               ;   in Loop: Header=BB7_6 Depth=1
	s_or_b64 exec, exec, s[2:3]
	s_waitcnt lgkmcnt(0)
	s_barrier
	ds_read_b32 v7, v10
	s_waitcnt lgkmcnt(0)
	v_add_f32_e32 v6, v6, v7
	ds_write_b32 v10, v6
	s_waitcnt lgkmcnt(0)
	s_barrier
	s_and_saveexec_b64 s[2:3], s[16:17]
	s_cbranch_execz .LBB7_16
; %bb.13:                               ;   in Loop: Header=BB7_6 Depth=1
	ds_read_b64 v[5:6], v9
	ds_read_b64 v[7:8], v24
	s_waitcnt lgkmcnt(0)
	v_cmp_eq_u64_e32 vcc, v[5:6], v[7:8]
	v_mov_b32_e32 v5, 0
	s_and_saveexec_b64 s[26:27], vcc
; %bb.14:                               ;   in Loop: Header=BB7_6 Depth=1
	ds_read_b32 v5, v12
; %bb.15:                               ;   in Loop: Header=BB7_6 Depth=1
	s_or_b64 exec, exec, s[26:27]
.LBB7_16:                               ;   in Loop: Header=BB7_6 Depth=1
	s_or_b64 exec, exec, s[2:3]
	s_waitcnt lgkmcnt(0)
	s_barrier
	ds_read_b32 v6, v10
	s_waitcnt lgkmcnt(0)
	v_add_f32_e32 v5, v5, v6
	ds_write_b32 v10, v5
	v_mov_b32_e32 v5, 0
	v_mov_b32_e32 v6, 0
	s_waitcnt lgkmcnt(0)
	s_barrier
	s_and_saveexec_b64 s[2:3], s[18:19]
	s_cbranch_execz .LBB7_20
; %bb.17:                               ;   in Loop: Header=BB7_6 Depth=1
	ds_read_b64 v[6:7], v9
	ds_read_b64 v[27:28], v25
	s_waitcnt lgkmcnt(0)
	v_cmp_eq_u64_e32 vcc, v[6:7], v[27:28]
	v_mov_b32_e32 v6, 0
	s_and_saveexec_b64 s[26:27], vcc
; %bb.18:                               ;   in Loop: Header=BB7_6 Depth=1
	ds_read_b32 v6, v13
; %bb.19:                               ;   in Loop: Header=BB7_6 Depth=1
	s_or_b64 exec, exec, s[26:27]
.LBB7_20:                               ;   in Loop: Header=BB7_6 Depth=1
	s_or_b64 exec, exec, s[2:3]
	s_waitcnt lgkmcnt(0)
	s_barrier
	ds_read_b32 v7, v10
	s_waitcnt lgkmcnt(0)
	v_add_f32_e32 v6, v6, v7
	ds_write_b32 v10, v6
	s_waitcnt lgkmcnt(0)
	s_barrier
	s_and_saveexec_b64 s[2:3], s[20:21]
	s_cbranch_execz .LBB7_24
; %bb.21:                               ;   in Loop: Header=BB7_6 Depth=1
	ds_read_b64 v[5:6], v9
	ds_read_b64 v[7:8], v26
	s_waitcnt lgkmcnt(0)
	v_cmp_eq_u64_e32 vcc, v[5:6], v[7:8]
	v_mov_b32_e32 v5, 0
	s_and_saveexec_b64 s[26:27], vcc
; %bb.22:                               ;   in Loop: Header=BB7_6 Depth=1
	ds_read_b32 v5, v14
; %bb.23:                               ;   in Loop: Header=BB7_6 Depth=1
	s_or_b64 exec, exec, s[26:27]
.LBB7_24:                               ;   in Loop: Header=BB7_6 Depth=1
	s_or_b64 exec, exec, s[2:3]
	s_waitcnt lgkmcnt(0)
	s_barrier
	ds_read_b32 v6, v10
	s_waitcnt lgkmcnt(0)
	v_add_f32_e32 v5, v5, v6
	ds_write_b32 v10, v5
	v_mov_b32_e32 v5, 0
	v_mov_b32_e32 v6, 0
	s_waitcnt lgkmcnt(0)
	s_barrier
	s_and_saveexec_b64 s[2:3], s[22:23]
	s_cbranch_execz .LBB7_28
; %bb.25:                               ;   in Loop: Header=BB7_6 Depth=1
	ds_read_b64 v[6:7], v9
	ds_read_b64 v[27:28], v19
	s_waitcnt lgkmcnt(0)
	v_cmp_eq_u64_e32 vcc, v[6:7], v[27:28]
	v_mov_b32_e32 v6, 0
	s_and_saveexec_b64 s[26:27], vcc
; %bb.26:                               ;   in Loop: Header=BB7_6 Depth=1
	ds_read_b32 v6, v15
; %bb.27:                               ;   in Loop: Header=BB7_6 Depth=1
	s_or_b64 exec, exec, s[26:27]
.LBB7_28:                               ;   in Loop: Header=BB7_6 Depth=1
	;; [unrolled: 48-line block ×3, first 2 shown]
	s_or_b64 exec, exec, s[2:3]
	s_waitcnt lgkmcnt(0)
	s_barrier
	ds_read_b32 v7, v10
	s_waitcnt lgkmcnt(0)
	v_add_f32_e32 v6, v6, v7
	ds_write_b32 v10, v6
	s_waitcnt lgkmcnt(0)
	s_barrier
	s_and_saveexec_b64 s[2:3], s[14:15]
	s_cbranch_execz .LBB7_40
; %bb.37:                               ;   in Loop: Header=BB7_6 Depth=1
	ds_read_b64 v[5:6], v9
	ds_read_b64 v[7:8], v22
	s_waitcnt lgkmcnt(0)
	v_cmp_eq_u64_e32 vcc, v[5:6], v[7:8]
	v_mov_b32_e32 v5, 0
	s_and_saveexec_b64 s[26:27], vcc
; %bb.38:                               ;   in Loop: Header=BB7_6 Depth=1
	ds_read_b32 v5, v18
; %bb.39:                               ;   in Loop: Header=BB7_6 Depth=1
	s_or_b64 exec, exec, s[26:27]
.LBB7_40:                               ;   in Loop: Header=BB7_6 Depth=1
	s_or_b64 exec, exec, s[2:3]
	s_waitcnt lgkmcnt(0)
	s_barrier
	ds_read_b32 v6, v10
	v_mov_b32_e32 v7, -1
	v_mov_b32_e32 v8, -1
	s_waitcnt lgkmcnt(0)
	v_add_f32_e32 v5, v5, v6
	ds_write_b32 v10, v5
	s_waitcnt lgkmcnt(0)
	s_barrier
	ds_read_b64 v[5:6], v9
	s_and_saveexec_b64 s[2:3], s[0:1]
; %bb.41:                               ;   in Loop: Header=BB7_6 Depth=1
	ds_read_b64 v[7:8], v9 offset:8
; %bb.42:                               ;   in Loop: Header=BB7_6 Depth=1
	s_or_b64 exec, exec, s[2:3]
	s_waitcnt lgkmcnt(0)
	v_cmp_ne_u64_e32 vcc, v[5:6], v[7:8]
	v_cmp_lt_i64_e64 s[2:3], -1, v[5:6]
	s_and_b64 s[26:27], s[2:3], vcc
	s_and_saveexec_b64 s[2:3], s[26:27]
	s_cbranch_execz .LBB7_5
; %bb.43:                               ;   in Loop: Header=BB7_6 Depth=1
	v_lshlrev_b64 v[5:6], 2, v[5:6]
	v_mov_b32_e32 v7, s7
	v_add_co_u32_e32 v5, vcc, s6, v5
	v_addc_co_u32_e32 v6, vcc, v7, v6, vcc
	global_load_dword v7, v[5:6], off
	ds_read_b32 v8, v10
	s_waitcnt vmcnt(0) lgkmcnt(0)
	v_add_f32_e32 v7, v7, v8
	global_store_dword v[5:6], v7, off
	s_branch .LBB7_5
.LBB7_44:
	s_endpgm
	.section	.rodata,"a",@progbits
	.p2align	6, 0x0
	.amdhsa_kernel _ZN9rocsparseL29coomvn_segmented_loops_reduceILj256ElffEEvT0_NS_24const_host_device_scalarIT2_EEPKS1_PKS3_PT1_b
		.amdhsa_group_segment_fixed_size 3072
		.amdhsa_private_segment_fixed_size 0
		.amdhsa_kernarg_size 44
		.amdhsa_user_sgpr_count 6
		.amdhsa_user_sgpr_private_segment_buffer 1
		.amdhsa_user_sgpr_dispatch_ptr 0
		.amdhsa_user_sgpr_queue_ptr 0
		.amdhsa_user_sgpr_kernarg_segment_ptr 1
		.amdhsa_user_sgpr_dispatch_id 0
		.amdhsa_user_sgpr_flat_scratch_init 0
		.amdhsa_user_sgpr_private_segment_size 0
		.amdhsa_uses_dynamic_stack 0
		.amdhsa_system_sgpr_private_segment_wavefront_offset 0
		.amdhsa_system_sgpr_workgroup_id_x 1
		.amdhsa_system_sgpr_workgroup_id_y 0
		.amdhsa_system_sgpr_workgroup_id_z 0
		.amdhsa_system_sgpr_workgroup_info 0
		.amdhsa_system_vgpr_workitem_id 0
		.amdhsa_next_free_vgpr 31
		.amdhsa_next_free_sgpr 28
		.amdhsa_reserve_vcc 1
		.amdhsa_reserve_flat_scratch 0
		.amdhsa_float_round_mode_32 0
		.amdhsa_float_round_mode_16_64 0
		.amdhsa_float_denorm_mode_32 3
		.amdhsa_float_denorm_mode_16_64 3
		.amdhsa_dx10_clamp 1
		.amdhsa_ieee_mode 1
		.amdhsa_fp16_overflow 0
		.amdhsa_exception_fp_ieee_invalid_op 0
		.amdhsa_exception_fp_denorm_src 0
		.amdhsa_exception_fp_ieee_div_zero 0
		.amdhsa_exception_fp_ieee_overflow 0
		.amdhsa_exception_fp_ieee_underflow 0
		.amdhsa_exception_fp_ieee_inexact 0
		.amdhsa_exception_int_div_zero 0
	.end_amdhsa_kernel
	.section	.text._ZN9rocsparseL29coomvn_segmented_loops_reduceILj256ElffEEvT0_NS_24const_host_device_scalarIT2_EEPKS1_PKS3_PT1_b,"axG",@progbits,_ZN9rocsparseL29coomvn_segmented_loops_reduceILj256ElffEEvT0_NS_24const_host_device_scalarIT2_EEPKS1_PKS3_PT1_b,comdat
.Lfunc_end7:
	.size	_ZN9rocsparseL29coomvn_segmented_loops_reduceILj256ElffEEvT0_NS_24const_host_device_scalarIT2_EEPKS1_PKS3_PT1_b, .Lfunc_end7-_ZN9rocsparseL29coomvn_segmented_loops_reduceILj256ElffEEvT0_NS_24const_host_device_scalarIT2_EEPKS1_PKS3_PT1_b
                                        ; -- End function
	.set _ZN9rocsparseL29coomvn_segmented_loops_reduceILj256ElffEEvT0_NS_24const_host_device_scalarIT2_EEPKS1_PKS3_PT1_b.num_vgpr, 31
	.set _ZN9rocsparseL29coomvn_segmented_loops_reduceILj256ElffEEvT0_NS_24const_host_device_scalarIT2_EEPKS1_PKS3_PT1_b.num_agpr, 0
	.set _ZN9rocsparseL29coomvn_segmented_loops_reduceILj256ElffEEvT0_NS_24const_host_device_scalarIT2_EEPKS1_PKS3_PT1_b.numbered_sgpr, 28
	.set _ZN9rocsparseL29coomvn_segmented_loops_reduceILj256ElffEEvT0_NS_24const_host_device_scalarIT2_EEPKS1_PKS3_PT1_b.num_named_barrier, 0
	.set _ZN9rocsparseL29coomvn_segmented_loops_reduceILj256ElffEEvT0_NS_24const_host_device_scalarIT2_EEPKS1_PKS3_PT1_b.private_seg_size, 0
	.set _ZN9rocsparseL29coomvn_segmented_loops_reduceILj256ElffEEvT0_NS_24const_host_device_scalarIT2_EEPKS1_PKS3_PT1_b.uses_vcc, 1
	.set _ZN9rocsparseL29coomvn_segmented_loops_reduceILj256ElffEEvT0_NS_24const_host_device_scalarIT2_EEPKS1_PKS3_PT1_b.uses_flat_scratch, 0
	.set _ZN9rocsparseL29coomvn_segmented_loops_reduceILj256ElffEEvT0_NS_24const_host_device_scalarIT2_EEPKS1_PKS3_PT1_b.has_dyn_sized_stack, 0
	.set _ZN9rocsparseL29coomvn_segmented_loops_reduceILj256ElffEEvT0_NS_24const_host_device_scalarIT2_EEPKS1_PKS3_PT1_b.has_recursion, 0
	.set _ZN9rocsparseL29coomvn_segmented_loops_reduceILj256ElffEEvT0_NS_24const_host_device_scalarIT2_EEPKS1_PKS3_PT1_b.has_indirect_call, 0
	.section	.AMDGPU.csdata,"",@progbits
; Kernel info:
; codeLenInByte = 1444
; TotalNumSgprs: 32
; NumVgprs: 31
; ScratchSize: 0
; MemoryBound: 0
; FloatMode: 240
; IeeeMode: 1
; LDSByteSize: 3072 bytes/workgroup (compile time only)
; SGPRBlocks: 3
; VGPRBlocks: 7
; NumSGPRsForWavesPerEU: 32
; NumVGPRsForWavesPerEU: 31
; Occupancy: 8
; WaveLimiterHint : 0
; COMPUTE_PGM_RSRC2:SCRATCH_EN: 0
; COMPUTE_PGM_RSRC2:USER_SGPR: 6
; COMPUTE_PGM_RSRC2:TRAP_HANDLER: 0
; COMPUTE_PGM_RSRC2:TGID_X_EN: 1
; COMPUTE_PGM_RSRC2:TGID_Y_EN: 0
; COMPUTE_PGM_RSRC2:TGID_Z_EN: 0
; COMPUTE_PGM_RSRC2:TIDIG_COMP_CNT: 0
	.section	.text._ZN9rocsparseL23coomvn_aos_atomic_loopsILj256ELj1EiddddEEvlNS_24const_host_device_scalarIT5_EEPKT1_PKT2_PKT3_PT4_21rocsparse_index_base_b,"axG",@progbits,_ZN9rocsparseL23coomvn_aos_atomic_loopsILj256ELj1EiddddEEvlNS_24const_host_device_scalarIT5_EEPKT1_PKT2_PKT3_PT4_21rocsparse_index_base_b,comdat
	.globl	_ZN9rocsparseL23coomvn_aos_atomic_loopsILj256ELj1EiddddEEvlNS_24const_host_device_scalarIT5_EEPKT1_PKT2_PKT3_PT4_21rocsparse_index_base_b ; -- Begin function _ZN9rocsparseL23coomvn_aos_atomic_loopsILj256ELj1EiddddEEvlNS_24const_host_device_scalarIT5_EEPKT1_PKT2_PKT3_PT4_21rocsparse_index_base_b
	.p2align	8
	.type	_ZN9rocsparseL23coomvn_aos_atomic_loopsILj256ELj1EiddddEEvlNS_24const_host_device_scalarIT5_EEPKT1_PKT2_PKT3_PT4_21rocsparse_index_base_b,@function
_ZN9rocsparseL23coomvn_aos_atomic_loopsILj256ELj1EiddddEEvlNS_24const_host_device_scalarIT5_EEPKT1_PKT2_PKT3_PT4_21rocsparse_index_base_b: ; @_ZN9rocsparseL23coomvn_aos_atomic_loopsILj256ELj1EiddddEEvlNS_24const_host_device_scalarIT5_EEPKT1_PKT2_PKT3_PT4_21rocsparse_index_base_b
; %bb.0:
	s_load_dwordx2 s[8:9], s[4:5], 0x30
	s_load_dwordx4 s[0:3], s[4:5], 0x0
	s_waitcnt lgkmcnt(0)
	s_bitcmp1_b32 s9, 0
	s_cselect_b64 s[10:11], -1, 0
	v_mov_b32_e32 v6, s3
	s_and_b64 vcc, exec, s[10:11]
	v_mov_b32_e32 v5, s2
	s_cbranch_vccnz .LBB8_2
; %bb.1:
	v_mov_b32_e32 v1, s2
	v_mov_b32_e32 v2, s3
	flat_load_dwordx2 v[5:6], v[1:2]
.LBB8_2:
	s_waitcnt vmcnt(0) lgkmcnt(0)
	v_cmp_neq_f64_e32 vcc, 0, v[5:6]
	s_and_saveexec_b64 s[2:3], vcc
	s_cbranch_execz .LBB8_44
; %bb.3:
	v_lshl_or_b32 v1, s6, 8, v0
	v_mov_b32_e32 v2, 0
	v_cmp_gt_i64_e32 vcc, s[0:1], v[1:2]
	v_mov_b32_e32 v7, 0
	v_mov_b32_e32 v8, 0
	v_mov_b32_e32 v9, -1
	s_and_saveexec_b64 s[0:1], vcc
	s_cbranch_execz .LBB8_5
; %bb.4:
	s_load_dwordx4 s[12:15], s[4:5], 0x10
	s_load_dwordx2 s[2:3], s[4:5], 0x20
	v_lshlrev_b64 v[1:2], 3, v[1:2]
	s_waitcnt lgkmcnt(0)
	v_mov_b32_e32 v4, s13
	v_add_co_u32_e32 v3, vcc, s12, v1
	v_addc_co_u32_e32 v4, vcc, v4, v2, vcc
	global_load_dwordx2 v[3:4], v[3:4], off glc slc
	v_mov_b32_e32 v7, s15
	v_add_co_u32_e32 v1, vcc, s14, v1
	v_addc_co_u32_e32 v2, vcc, v7, v2, vcc
	v_mov_b32_e32 v9, s3
	global_load_dwordx2 v[1:2], v[1:2], off glc slc
	s_waitcnt vmcnt(1)
	v_subrev_u32_e32 v7, s8, v4
	v_ashrrev_i32_e32 v8, 31, v7
	v_lshlrev_b64 v[7:8], 3, v[7:8]
	v_add_co_u32_e32 v7, vcc, s2, v7
	v_addc_co_u32_e32 v8, vcc, v9, v8, vcc
	global_load_dwordx2 v[7:8], v[7:8], off
	v_subrev_u32_e32 v9, s8, v3
	s_waitcnt vmcnt(0)
	v_mul_f64 v[7:8], v[1:2], v[7:8]
.LBB8_5:
	s_or_b64 exec, exec, s[0:1]
	v_lshlrev_b32_e32 v2, 2, v0
	v_or_b32_e32 v1, 0x800, v2
	ds_write_b32 v2, v9 offset:2048
	v_lshlrev_b32_e32 v2, 3, v0
	v_cmp_ne_u32_e32 vcc, 0, v0
	ds_write_b64 v2, v[7:8]
	s_waitcnt lgkmcnt(0)
	s_barrier
	s_and_saveexec_b64 s[0:1], vcc
	s_cbranch_execz .LBB8_9
; %bb.6:
	v_add_u32_e32 v3, -4, v1
	ds_read_b32 v3, v3
	s_waitcnt lgkmcnt(0)
	v_cmp_eq_u32_e32 vcc, v9, v3
	s_and_saveexec_b64 s[2:3], vcc
	s_cbranch_execz .LBB8_8
; %bb.7:
	v_add_u32_e32 v3, -8, v2
	ds_read_b64 v[3:4], v3
	s_waitcnt lgkmcnt(0)
	v_add_f64 v[7:8], v[7:8], v[3:4]
.LBB8_8:
	s_or_b64 exec, exec, s[2:3]
.LBB8_9:
	s_or_b64 exec, exec, s[0:1]
	v_cmp_lt_u32_e32 vcc, 1, v0
	s_barrier
	ds_write_b64 v2, v[7:8]
	s_waitcnt lgkmcnt(0)
	s_barrier
	s_and_saveexec_b64 s[0:1], vcc
	s_cbranch_execz .LBB8_13
; %bb.10:
	v_add_u32_e32 v3, -8, v1
	ds_read_b32 v3, v3
	s_waitcnt lgkmcnt(0)
	v_cmp_eq_u32_e32 vcc, v9, v3
	s_and_saveexec_b64 s[2:3], vcc
	s_cbranch_execz .LBB8_12
; %bb.11:
	v_add_u32_e32 v3, -16, v2
	ds_read_b64 v[3:4], v3
	s_waitcnt lgkmcnt(0)
	v_add_f64 v[7:8], v[7:8], v[3:4]
.LBB8_12:
	s_or_b64 exec, exec, s[2:3]
.LBB8_13:
	s_or_b64 exec, exec, s[0:1]
	v_cmp_lt_u32_e32 vcc, 3, v0
	s_barrier
	ds_write_b64 v2, v[7:8]
	s_waitcnt lgkmcnt(0)
	s_barrier
	s_and_saveexec_b64 s[0:1], vcc
	s_cbranch_execz .LBB8_17
; %bb.14:
	v_add_u32_e32 v3, -16, v1
	ds_read_b32 v3, v3
	s_waitcnt lgkmcnt(0)
	v_cmp_eq_u32_e32 vcc, v9, v3
	s_and_saveexec_b64 s[2:3], vcc
	s_cbranch_execz .LBB8_16
; %bb.15:
	v_subrev_u32_e32 v3, 32, v2
	ds_read_b64 v[3:4], v3
	s_waitcnt lgkmcnt(0)
	v_add_f64 v[7:8], v[7:8], v[3:4]
.LBB8_16:
	s_or_b64 exec, exec, s[2:3]
.LBB8_17:
	s_or_b64 exec, exec, s[0:1]
	v_cmp_lt_u32_e32 vcc, 7, v0
	s_barrier
	ds_write_b64 v2, v[7:8]
	s_waitcnt lgkmcnt(0)
	s_barrier
	s_and_saveexec_b64 s[0:1], vcc
	s_cbranch_execz .LBB8_21
; %bb.18:
	v_subrev_u32_e32 v3, 32, v1
	ds_read_b32 v3, v3
	s_waitcnt lgkmcnt(0)
	v_cmp_eq_u32_e32 vcc, v9, v3
	s_and_saveexec_b64 s[2:3], vcc
	s_cbranch_execz .LBB8_20
; %bb.19:
	v_subrev_u32_e32 v3, 64, v2
	ds_read_b64 v[3:4], v3
	s_waitcnt lgkmcnt(0)
	v_add_f64 v[7:8], v[7:8], v[3:4]
.LBB8_20:
	s_or_b64 exec, exec, s[2:3]
.LBB8_21:
	s_or_b64 exec, exec, s[0:1]
	v_cmp_lt_u32_e32 vcc, 15, v0
	s_barrier
	ds_write_b64 v2, v[7:8]
	s_waitcnt lgkmcnt(0)
	s_barrier
	s_and_saveexec_b64 s[0:1], vcc
	s_cbranch_execz .LBB8_25
; %bb.22:
	v_subrev_u32_e32 v3, 64, v1
	ds_read_b32 v3, v3
	s_waitcnt lgkmcnt(0)
	v_cmp_eq_u32_e32 vcc, v9, v3
	s_and_saveexec_b64 s[2:3], vcc
	s_cbranch_execz .LBB8_24
; %bb.23:
	v_add_u32_e32 v3, 0xffffff80, v2
	ds_read_b64 v[3:4], v3
	s_waitcnt lgkmcnt(0)
	v_add_f64 v[7:8], v[7:8], v[3:4]
.LBB8_24:
	s_or_b64 exec, exec, s[2:3]
.LBB8_25:
	s_or_b64 exec, exec, s[0:1]
	v_cmp_lt_u32_e32 vcc, 31, v0
	s_barrier
	ds_write_b64 v2, v[7:8]
	s_waitcnt lgkmcnt(0)
	s_barrier
	s_and_saveexec_b64 s[0:1], vcc
	s_cbranch_execz .LBB8_29
; %bb.26:
	v_add_u32_e32 v3, 0xffffff80, v1
	ds_read_b32 v3, v3
	s_waitcnt lgkmcnt(0)
	v_cmp_eq_u32_e32 vcc, v9, v3
	s_and_saveexec_b64 s[2:3], vcc
	s_cbranch_execz .LBB8_28
; %bb.27:
	v_add_u32_e32 v3, 0xffffff00, v2
	ds_read_b64 v[3:4], v3
	s_waitcnt lgkmcnt(0)
	v_add_f64 v[7:8], v[7:8], v[3:4]
.LBB8_28:
	s_or_b64 exec, exec, s[2:3]
.LBB8_29:
	s_or_b64 exec, exec, s[0:1]
	v_cmp_lt_u32_e32 vcc, 63, v0
	s_barrier
	ds_write_b64 v2, v[7:8]
	s_waitcnt lgkmcnt(0)
	s_barrier
	s_and_saveexec_b64 s[0:1], vcc
	s_cbranch_execz .LBB8_33
; %bb.30:
	v_add_u32_e32 v3, 0xffffff00, v1
	ds_read_b32 v3, v3
	s_waitcnt lgkmcnt(0)
	v_cmp_eq_u32_e32 vcc, v9, v3
	s_and_saveexec_b64 s[2:3], vcc
	s_cbranch_execz .LBB8_32
; %bb.31:
	v_add_u32_e32 v3, 0xfffffe00, v2
	ds_read_b64 v[3:4], v3
	s_waitcnt lgkmcnt(0)
	v_add_f64 v[7:8], v[7:8], v[3:4]
.LBB8_32:
	s_or_b64 exec, exec, s[2:3]
.LBB8_33:
	s_or_b64 exec, exec, s[0:1]
	s_load_dwordx2 s[2:3], s[4:5], 0x28
	s_movk_i32 s0, 0x7f
	v_cmp_lt_u32_e32 vcc, s0, v0
	s_waitcnt lgkmcnt(0)
	s_barrier
	ds_write_b64 v2, v[7:8]
	s_waitcnt lgkmcnt(0)
	s_barrier
	s_and_saveexec_b64 s[0:1], vcc
	s_cbranch_execz .LBB8_37
; %bb.34:
	v_add_u32_e32 v3, 0xfffffe00, v1
	ds_read_b32 v3, v3
	s_waitcnt lgkmcnt(0)
	v_cmp_eq_u32_e32 vcc, v9, v3
	s_and_saveexec_b64 s[4:5], vcc
	s_cbranch_execz .LBB8_36
; %bb.35:
	v_add_u32_e32 v3, 0xfffffc00, v2
	ds_read_b64 v[3:4], v3
	s_waitcnt lgkmcnt(0)
	v_add_f64 v[7:8], v[7:8], v[3:4]
.LBB8_36:
	s_or_b64 exec, exec, s[4:5]
.LBB8_37:
	s_or_b64 exec, exec, s[0:1]
	s_movk_i32 s6, 0xff
	v_cmp_gt_u32_e32 vcc, s6, v0
	s_barrier
	ds_write_b64 v2, v[7:8]
	s_waitcnt lgkmcnt(0)
	s_barrier
	s_and_saveexec_b64 s[4:5], vcc
	s_cbranch_execz .LBB8_41
; %bb.38:
	ds_read_b32 v1, v1 offset:4
	v_cmp_lt_i32_e64 s[0:1], -1, v9
	s_waitcnt lgkmcnt(0)
	v_cmp_ne_u32_e32 vcc, v9, v1
	s_and_b64 s[0:1], s[0:1], vcc
	s_and_b64 exec, exec, s[0:1]
	s_cbranch_execz .LBB8_41
; %bb.39:
	v_mov_b32_e32 v10, 0
	v_lshlrev_b64 v[1:2], 3, v[9:10]
	v_mov_b32_e32 v3, s3
	v_add_co_u32_e32 v10, vcc, s2, v1
	v_addc_co_u32_e32 v11, vcc, v3, v2, vcc
	global_load_dwordx2 v[3:4], v[10:11], off
	v_mul_f64 v[12:13], v[5:6], v[7:8]
	s_mov_b64 s[0:1], 0
.LBB8_40:                               ; =>This Inner Loop Header: Depth=1
	s_waitcnt vmcnt(0)
	v_add_f64 v[1:2], v[3:4], v[12:13]
	global_atomic_cmpswap_x2 v[1:2], v[10:11], v[1:4], off glc
	s_waitcnt vmcnt(0)
	v_cmp_eq_u64_e32 vcc, v[1:2], v[3:4]
	v_mov_b32_e32 v4, v2
	s_or_b64 s[0:1], vcc, s[0:1]
	v_mov_b32_e32 v3, v1
	s_andn2_b64 exec, exec, s[0:1]
	s_cbranch_execnz .LBB8_40
.LBB8_41:
	s_or_b64 exec, exec, s[4:5]
	v_cmp_eq_u32_e32 vcc, s6, v0
	v_cmp_lt_i32_e64 s[0:1], -1, v9
	s_and_b64 s[0:1], vcc, s[0:1]
	s_and_b64 exec, exec, s[0:1]
	s_cbranch_execz .LBB8_44
; %bb.42:
	v_mov_b32_e32 v10, 0
	v_lshlrev_b64 v[0:1], 3, v[9:10]
	v_mov_b32_e32 v2, s3
	v_add_co_u32_e32 v9, vcc, s2, v0
	v_addc_co_u32_e32 v10, vcc, v2, v1, vcc
	global_load_dwordx2 v[2:3], v[9:10], off
	v_mul_f64 v[4:5], v[5:6], v[7:8]
	s_mov_b64 s[0:1], 0
.LBB8_43:                               ; =>This Inner Loop Header: Depth=1
	s_waitcnt vmcnt(0)
	v_add_f64 v[0:1], v[2:3], v[4:5]
	global_atomic_cmpswap_x2 v[0:1], v[9:10], v[0:3], off glc
	s_waitcnt vmcnt(0)
	v_cmp_eq_u64_e32 vcc, v[0:1], v[2:3]
	v_mov_b32_e32 v3, v1
	s_or_b64 s[0:1], vcc, s[0:1]
	v_mov_b32_e32 v2, v0
	s_andn2_b64 exec, exec, s[0:1]
	s_cbranch_execnz .LBB8_43
.LBB8_44:
	s_endpgm
	.section	.rodata,"a",@progbits
	.p2align	6, 0x0
	.amdhsa_kernel _ZN9rocsparseL23coomvn_aos_atomic_loopsILj256ELj1EiddddEEvlNS_24const_host_device_scalarIT5_EEPKT1_PKT2_PKT3_PT4_21rocsparse_index_base_b
		.amdhsa_group_segment_fixed_size 3072
		.amdhsa_private_segment_fixed_size 0
		.amdhsa_kernarg_size 56
		.amdhsa_user_sgpr_count 6
		.amdhsa_user_sgpr_private_segment_buffer 1
		.amdhsa_user_sgpr_dispatch_ptr 0
		.amdhsa_user_sgpr_queue_ptr 0
		.amdhsa_user_sgpr_kernarg_segment_ptr 1
		.amdhsa_user_sgpr_dispatch_id 0
		.amdhsa_user_sgpr_flat_scratch_init 0
		.amdhsa_user_sgpr_private_segment_size 0
		.amdhsa_uses_dynamic_stack 0
		.amdhsa_system_sgpr_private_segment_wavefront_offset 0
		.amdhsa_system_sgpr_workgroup_id_x 1
		.amdhsa_system_sgpr_workgroup_id_y 0
		.amdhsa_system_sgpr_workgroup_id_z 0
		.amdhsa_system_sgpr_workgroup_info 0
		.amdhsa_system_vgpr_workitem_id 0
		.amdhsa_next_free_vgpr 14
		.amdhsa_next_free_sgpr 16
		.amdhsa_reserve_vcc 1
		.amdhsa_reserve_flat_scratch 0
		.amdhsa_float_round_mode_32 0
		.amdhsa_float_round_mode_16_64 0
		.amdhsa_float_denorm_mode_32 3
		.amdhsa_float_denorm_mode_16_64 3
		.amdhsa_dx10_clamp 1
		.amdhsa_ieee_mode 1
		.amdhsa_fp16_overflow 0
		.amdhsa_exception_fp_ieee_invalid_op 0
		.amdhsa_exception_fp_denorm_src 0
		.amdhsa_exception_fp_ieee_div_zero 0
		.amdhsa_exception_fp_ieee_overflow 0
		.amdhsa_exception_fp_ieee_underflow 0
		.amdhsa_exception_fp_ieee_inexact 0
		.amdhsa_exception_int_div_zero 0
	.end_amdhsa_kernel
	.section	.text._ZN9rocsparseL23coomvn_aos_atomic_loopsILj256ELj1EiddddEEvlNS_24const_host_device_scalarIT5_EEPKT1_PKT2_PKT3_PT4_21rocsparse_index_base_b,"axG",@progbits,_ZN9rocsparseL23coomvn_aos_atomic_loopsILj256ELj1EiddddEEvlNS_24const_host_device_scalarIT5_EEPKT1_PKT2_PKT3_PT4_21rocsparse_index_base_b,comdat
.Lfunc_end8:
	.size	_ZN9rocsparseL23coomvn_aos_atomic_loopsILj256ELj1EiddddEEvlNS_24const_host_device_scalarIT5_EEPKT1_PKT2_PKT3_PT4_21rocsparse_index_base_b, .Lfunc_end8-_ZN9rocsparseL23coomvn_aos_atomic_loopsILj256ELj1EiddddEEvlNS_24const_host_device_scalarIT5_EEPKT1_PKT2_PKT3_PT4_21rocsparse_index_base_b
                                        ; -- End function
	.set _ZN9rocsparseL23coomvn_aos_atomic_loopsILj256ELj1EiddddEEvlNS_24const_host_device_scalarIT5_EEPKT1_PKT2_PKT3_PT4_21rocsparse_index_base_b.num_vgpr, 14
	.set _ZN9rocsparseL23coomvn_aos_atomic_loopsILj256ELj1EiddddEEvlNS_24const_host_device_scalarIT5_EEPKT1_PKT2_PKT3_PT4_21rocsparse_index_base_b.num_agpr, 0
	.set _ZN9rocsparseL23coomvn_aos_atomic_loopsILj256ELj1EiddddEEvlNS_24const_host_device_scalarIT5_EEPKT1_PKT2_PKT3_PT4_21rocsparse_index_base_b.numbered_sgpr, 16
	.set _ZN9rocsparseL23coomvn_aos_atomic_loopsILj256ELj1EiddddEEvlNS_24const_host_device_scalarIT5_EEPKT1_PKT2_PKT3_PT4_21rocsparse_index_base_b.num_named_barrier, 0
	.set _ZN9rocsparseL23coomvn_aos_atomic_loopsILj256ELj1EiddddEEvlNS_24const_host_device_scalarIT5_EEPKT1_PKT2_PKT3_PT4_21rocsparse_index_base_b.private_seg_size, 0
	.set _ZN9rocsparseL23coomvn_aos_atomic_loopsILj256ELj1EiddddEEvlNS_24const_host_device_scalarIT5_EEPKT1_PKT2_PKT3_PT4_21rocsparse_index_base_b.uses_vcc, 1
	.set _ZN9rocsparseL23coomvn_aos_atomic_loopsILj256ELj1EiddddEEvlNS_24const_host_device_scalarIT5_EEPKT1_PKT2_PKT3_PT4_21rocsparse_index_base_b.uses_flat_scratch, 0
	.set _ZN9rocsparseL23coomvn_aos_atomic_loopsILj256ELj1EiddddEEvlNS_24const_host_device_scalarIT5_EEPKT1_PKT2_PKT3_PT4_21rocsparse_index_base_b.has_dyn_sized_stack, 0
	.set _ZN9rocsparseL23coomvn_aos_atomic_loopsILj256ELj1EiddddEEvlNS_24const_host_device_scalarIT5_EEPKT1_PKT2_PKT3_PT4_21rocsparse_index_base_b.has_recursion, 0
	.set _ZN9rocsparseL23coomvn_aos_atomic_loopsILj256ELj1EiddddEEvlNS_24const_host_device_scalarIT5_EEPKT1_PKT2_PKT3_PT4_21rocsparse_index_base_b.has_indirect_call, 0
	.section	.AMDGPU.csdata,"",@progbits
; Kernel info:
; codeLenInByte = 1328
; TotalNumSgprs: 20
; NumVgprs: 14
; ScratchSize: 0
; MemoryBound: 0
; FloatMode: 240
; IeeeMode: 1
; LDSByteSize: 3072 bytes/workgroup (compile time only)
; SGPRBlocks: 2
; VGPRBlocks: 3
; NumSGPRsForWavesPerEU: 20
; NumVGPRsForWavesPerEU: 14
; Occupancy: 10
; WaveLimiterHint : 1
; COMPUTE_PGM_RSRC2:SCRATCH_EN: 0
; COMPUTE_PGM_RSRC2:USER_SGPR: 6
; COMPUTE_PGM_RSRC2:TRAP_HANDLER: 0
; COMPUTE_PGM_RSRC2:TGID_X_EN: 1
; COMPUTE_PGM_RSRC2:TGID_Y_EN: 0
; COMPUTE_PGM_RSRC2:TGID_Z_EN: 0
; COMPUTE_PGM_RSRC2:TIDIG_COMP_CNT: 0
	.section	.text._ZN9rocsparseL17coomvt_aos_kernelILj1024EiddddEEv20rocsparse_operation_lNS_24const_host_device_scalarIT4_EEPKT0_PKT1_PKT2_PT3_21rocsparse_index_base_b,"axG",@progbits,_ZN9rocsparseL17coomvt_aos_kernelILj1024EiddddEEv20rocsparse_operation_lNS_24const_host_device_scalarIT4_EEPKT0_PKT1_PKT2_PT3_21rocsparse_index_base_b,comdat
	.globl	_ZN9rocsparseL17coomvt_aos_kernelILj1024EiddddEEv20rocsparse_operation_lNS_24const_host_device_scalarIT4_EEPKT0_PKT1_PKT2_PT3_21rocsparse_index_base_b ; -- Begin function _ZN9rocsparseL17coomvt_aos_kernelILj1024EiddddEEv20rocsparse_operation_lNS_24const_host_device_scalarIT4_EEPKT0_PKT1_PKT2_PT3_21rocsparse_index_base_b
	.p2align	8
	.type	_ZN9rocsparseL17coomvt_aos_kernelILj1024EiddddEEv20rocsparse_operation_lNS_24const_host_device_scalarIT4_EEPKT0_PKT1_PKT2_PT3_21rocsparse_index_base_b,@function
_ZN9rocsparseL17coomvt_aos_kernelILj1024EiddddEEv20rocsparse_operation_lNS_24const_host_device_scalarIT4_EEPKT0_PKT1_PKT2_PT3_21rocsparse_index_base_b: ; @_ZN9rocsparseL17coomvt_aos_kernelILj1024EiddddEEv20rocsparse_operation_lNS_24const_host_device_scalarIT4_EEPKT0_PKT1_PKT2_PT3_21rocsparse_index_base_b
; %bb.0:
	s_load_dwordx2 s[16:17], s[4:5], 0x38
	s_load_dwordx4 s[0:3], s[4:5], 0x8
	s_waitcnt lgkmcnt(0)
	s_bitcmp1_b32 s17, 0
	s_cselect_b64 s[8:9], -1, 0
	v_mov_b32_e32 v5, s3
	s_and_b64 vcc, exec, s[8:9]
	v_mov_b32_e32 v4, s2
	s_cbranch_vccnz .LBB9_2
; %bb.1:
	v_mov_b32_e32 v1, s2
	v_mov_b32_e32 v2, s3
	flat_load_dwordx2 v[4:5], v[1:2]
.LBB9_2:
	s_waitcnt vmcnt(0) lgkmcnt(0)
	v_cmp_neq_f64_e32 vcc, 0, v[4:5]
	s_and_saveexec_b64 s[2:3], vcc
	s_cbranch_execz .LBB9_6
; %bb.3:
	s_load_dword s2, s[4:5], 0x4c
	v_mov_b32_e32 v1, 0
	s_waitcnt lgkmcnt(0)
	s_and_b32 s2, s2, 0xffff
	s_mul_i32 s6, s6, s2
	v_add_u32_e32 v0, s6, v0
	v_cmp_gt_i64_e32 vcc, s[0:1], v[0:1]
	s_and_b64 exec, exec, vcc
	s_cbranch_execz .LBB9_6
; %bb.4:
	s_load_dwordx8 s[8:15], s[4:5], 0x18
	v_lshlrev_b64 v[0:1], 3, v[0:1]
	s_mov_b64 s[0:1], 0
	s_waitcnt lgkmcnt(0)
	v_mov_b32_e32 v3, s9
	v_add_co_u32_e32 v2, vcc, s8, v0
	v_addc_co_u32_e32 v3, vcc, v3, v1, vcc
	global_load_dwordx2 v[2:3], v[2:3], off
	v_mov_b32_e32 v6, s11
	v_add_co_u32_e32 v0, vcc, s10, v0
	v_addc_co_u32_e32 v1, vcc, v6, v1, vcc
	global_load_dwordx2 v[0:1], v[0:1], off
	v_mov_b32_e32 v7, s13
	s_waitcnt vmcnt(1)
	v_subrev_u32_e32 v2, s16, v2
	v_subrev_u32_e32 v6, s16, v3
	v_ashrrev_i32_e32 v3, 31, v2
	v_lshlrev_b64 v[2:3], 3, v[2:3]
	v_add_co_u32_e32 v2, vcc, s12, v2
	v_addc_co_u32_e32 v3, vcc, v7, v3, vcc
	global_load_dwordx2 v[8:9], v[2:3], off
	v_ashrrev_i32_e32 v7, 31, v6
	v_lshlrev_b64 v[2:3], 3, v[6:7]
	v_mov_b32_e32 v7, s15
	v_add_co_u32_e32 v6, vcc, s14, v2
	v_addc_co_u32_e32 v7, vcc, v7, v3, vcc
	global_load_dwordx2 v[2:3], v[6:7], off
	s_waitcnt vmcnt(2)
	v_mul_f64 v[0:1], v[4:5], v[0:1]
	s_waitcnt vmcnt(1)
	v_mul_f64 v[4:5], v[0:1], v[8:9]
.LBB9_5:                                ; =>This Inner Loop Header: Depth=1
	s_waitcnt vmcnt(0)
	v_add_f64 v[0:1], v[2:3], v[4:5]
	global_atomic_cmpswap_x2 v[0:1], v[6:7], v[0:3], off glc
	s_waitcnt vmcnt(0)
	v_cmp_eq_u64_e32 vcc, v[0:1], v[2:3]
	v_mov_b32_e32 v3, v1
	s_or_b64 s[0:1], vcc, s[0:1]
	v_mov_b32_e32 v2, v0
	s_andn2_b64 exec, exec, s[0:1]
	s_cbranch_execnz .LBB9_5
.LBB9_6:
	s_endpgm
	.section	.rodata,"a",@progbits
	.p2align	6, 0x0
	.amdhsa_kernel _ZN9rocsparseL17coomvt_aos_kernelILj1024EiddddEEv20rocsparse_operation_lNS_24const_host_device_scalarIT4_EEPKT0_PKT1_PKT2_PT3_21rocsparse_index_base_b
		.amdhsa_group_segment_fixed_size 0
		.amdhsa_private_segment_fixed_size 0
		.amdhsa_kernarg_size 320
		.amdhsa_user_sgpr_count 6
		.amdhsa_user_sgpr_private_segment_buffer 1
		.amdhsa_user_sgpr_dispatch_ptr 0
		.amdhsa_user_sgpr_queue_ptr 0
		.amdhsa_user_sgpr_kernarg_segment_ptr 1
		.amdhsa_user_sgpr_dispatch_id 0
		.amdhsa_user_sgpr_flat_scratch_init 0
		.amdhsa_user_sgpr_private_segment_size 0
		.amdhsa_uses_dynamic_stack 0
		.amdhsa_system_sgpr_private_segment_wavefront_offset 0
		.amdhsa_system_sgpr_workgroup_id_x 1
		.amdhsa_system_sgpr_workgroup_id_y 0
		.amdhsa_system_sgpr_workgroup_id_z 0
		.amdhsa_system_sgpr_workgroup_info 0
		.amdhsa_system_vgpr_workitem_id 0
		.amdhsa_next_free_vgpr 10
		.amdhsa_next_free_sgpr 18
		.amdhsa_reserve_vcc 1
		.amdhsa_reserve_flat_scratch 0
		.amdhsa_float_round_mode_32 0
		.amdhsa_float_round_mode_16_64 0
		.amdhsa_float_denorm_mode_32 3
		.amdhsa_float_denorm_mode_16_64 3
		.amdhsa_dx10_clamp 1
		.amdhsa_ieee_mode 1
		.amdhsa_fp16_overflow 0
		.amdhsa_exception_fp_ieee_invalid_op 0
		.amdhsa_exception_fp_denorm_src 0
		.amdhsa_exception_fp_ieee_div_zero 0
		.amdhsa_exception_fp_ieee_overflow 0
		.amdhsa_exception_fp_ieee_underflow 0
		.amdhsa_exception_fp_ieee_inexact 0
		.amdhsa_exception_int_div_zero 0
	.end_amdhsa_kernel
	.section	.text._ZN9rocsparseL17coomvt_aos_kernelILj1024EiddddEEv20rocsparse_operation_lNS_24const_host_device_scalarIT4_EEPKT0_PKT1_PKT2_PT3_21rocsparse_index_base_b,"axG",@progbits,_ZN9rocsparseL17coomvt_aos_kernelILj1024EiddddEEv20rocsparse_operation_lNS_24const_host_device_scalarIT4_EEPKT0_PKT1_PKT2_PT3_21rocsparse_index_base_b,comdat
.Lfunc_end9:
	.size	_ZN9rocsparseL17coomvt_aos_kernelILj1024EiddddEEv20rocsparse_operation_lNS_24const_host_device_scalarIT4_EEPKT0_PKT1_PKT2_PT3_21rocsparse_index_base_b, .Lfunc_end9-_ZN9rocsparseL17coomvt_aos_kernelILj1024EiddddEEv20rocsparse_operation_lNS_24const_host_device_scalarIT4_EEPKT0_PKT1_PKT2_PT3_21rocsparse_index_base_b
                                        ; -- End function
	.set _ZN9rocsparseL17coomvt_aos_kernelILj1024EiddddEEv20rocsparse_operation_lNS_24const_host_device_scalarIT4_EEPKT0_PKT1_PKT2_PT3_21rocsparse_index_base_b.num_vgpr, 10
	.set _ZN9rocsparseL17coomvt_aos_kernelILj1024EiddddEEv20rocsparse_operation_lNS_24const_host_device_scalarIT4_EEPKT0_PKT1_PKT2_PT3_21rocsparse_index_base_b.num_agpr, 0
	.set _ZN9rocsparseL17coomvt_aos_kernelILj1024EiddddEEv20rocsparse_operation_lNS_24const_host_device_scalarIT4_EEPKT0_PKT1_PKT2_PT3_21rocsparse_index_base_b.numbered_sgpr, 18
	.set _ZN9rocsparseL17coomvt_aos_kernelILj1024EiddddEEv20rocsparse_operation_lNS_24const_host_device_scalarIT4_EEPKT0_PKT1_PKT2_PT3_21rocsparse_index_base_b.num_named_barrier, 0
	.set _ZN9rocsparseL17coomvt_aos_kernelILj1024EiddddEEv20rocsparse_operation_lNS_24const_host_device_scalarIT4_EEPKT0_PKT1_PKT2_PT3_21rocsparse_index_base_b.private_seg_size, 0
	.set _ZN9rocsparseL17coomvt_aos_kernelILj1024EiddddEEv20rocsparse_operation_lNS_24const_host_device_scalarIT4_EEPKT0_PKT1_PKT2_PT3_21rocsparse_index_base_b.uses_vcc, 1
	.set _ZN9rocsparseL17coomvt_aos_kernelILj1024EiddddEEv20rocsparse_operation_lNS_24const_host_device_scalarIT4_EEPKT0_PKT1_PKT2_PT3_21rocsparse_index_base_b.uses_flat_scratch, 0
	.set _ZN9rocsparseL17coomvt_aos_kernelILj1024EiddddEEv20rocsparse_operation_lNS_24const_host_device_scalarIT4_EEPKT0_PKT1_PKT2_PT3_21rocsparse_index_base_b.has_dyn_sized_stack, 0
	.set _ZN9rocsparseL17coomvt_aos_kernelILj1024EiddddEEv20rocsparse_operation_lNS_24const_host_device_scalarIT4_EEPKT0_PKT1_PKT2_PT3_21rocsparse_index_base_b.has_recursion, 0
	.set _ZN9rocsparseL17coomvt_aos_kernelILj1024EiddddEEv20rocsparse_operation_lNS_24const_host_device_scalarIT4_EEPKT0_PKT1_PKT2_PT3_21rocsparse_index_base_b.has_indirect_call, 0
	.section	.AMDGPU.csdata,"",@progbits
; Kernel info:
; codeLenInByte = 336
; TotalNumSgprs: 22
; NumVgprs: 10
; ScratchSize: 0
; MemoryBound: 0
; FloatMode: 240
; IeeeMode: 1
; LDSByteSize: 0 bytes/workgroup (compile time only)
; SGPRBlocks: 2
; VGPRBlocks: 2
; NumSGPRsForWavesPerEU: 22
; NumVGPRsForWavesPerEU: 10
; Occupancy: 10
; WaveLimiterHint : 1
; COMPUTE_PGM_RSRC2:SCRATCH_EN: 0
; COMPUTE_PGM_RSRC2:USER_SGPR: 6
; COMPUTE_PGM_RSRC2:TRAP_HANDLER: 0
; COMPUTE_PGM_RSRC2:TGID_X_EN: 1
; COMPUTE_PGM_RSRC2:TGID_Y_EN: 0
; COMPUTE_PGM_RSRC2:TGID_Z_EN: 0
; COMPUTE_PGM_RSRC2:TIDIG_COMP_CNT: 0
	.section	.text._ZN9rocsparseL26coomvn_aos_segmented_loopsILj256EiddddEEvlT0_NS_24const_host_device_scalarIT4_EEPKS1_PKT1_PKT2_PT3_PS1_PS3_21rocsparse_index_base_b,"axG",@progbits,_ZN9rocsparseL26coomvn_aos_segmented_loopsILj256EiddddEEvlT0_NS_24const_host_device_scalarIT4_EEPKS1_PKT1_PKT2_PT3_PS1_PS3_21rocsparse_index_base_b,comdat
	.globl	_ZN9rocsparseL26coomvn_aos_segmented_loopsILj256EiddddEEvlT0_NS_24const_host_device_scalarIT4_EEPKS1_PKT1_PKT2_PT3_PS1_PS3_21rocsparse_index_base_b ; -- Begin function _ZN9rocsparseL26coomvn_aos_segmented_loopsILj256EiddddEEvlT0_NS_24const_host_device_scalarIT4_EEPKS1_PKT1_PKT2_PT3_PS1_PS3_21rocsparse_index_base_b
	.p2align	8
	.type	_ZN9rocsparseL26coomvn_aos_segmented_loopsILj256EiddddEEvlT0_NS_24const_host_device_scalarIT4_EEPKS1_PKT1_PKT2_PT3_PS1_PS3_21rocsparse_index_base_b,@function
_ZN9rocsparseL26coomvn_aos_segmented_loopsILj256EiddddEEvlT0_NS_24const_host_device_scalarIT4_EEPKS1_PKT1_PKT2_PT3_PS1_PS3_21rocsparse_index_base_b: ; @_ZN9rocsparseL26coomvn_aos_segmented_loopsILj256EiddddEEvlT0_NS_24const_host_device_scalarIT4_EEPKS1_PKT1_PKT2_PT3_PS1_PS3_21rocsparse_index_base_b
; %bb.0:
	s_load_dwordx2 s[34:35], s[4:5], 0x48
	s_load_dwordx2 s[0:1], s[4:5], 0x10
	s_waitcnt lgkmcnt(0)
	s_bitcmp1_b32 s35, 0
	s_cselect_b64 s[2:3], -1, 0
	v_mov_b32_e32 v2, s1
	s_and_b64 vcc, exec, s[2:3]
	v_mov_b32_e32 v1, s0
	s_cbranch_vccnz .LBB10_2
; %bb.1:
	v_mov_b32_e32 v2, s1
	v_mov_b32_e32 v1, s0
	flat_load_dwordx2 v[1:2], v[1:2]
.LBB10_2:
	s_waitcnt vmcnt(0) lgkmcnt(0)
	v_cmp_neq_f64_e32 vcc, 0, v[1:2]
	s_and_saveexec_b64 s[0:1], vcc
	s_cbranch_execz .LBB10_89
; %bb.3:
	s_load_dword s42, s[4:5], 0x8
	s_load_dwordx2 s[36:37], s[4:5], 0x0
	s_load_dwordx4 s[28:31], s[4:5], 0x18
	s_load_dwordx2 s[40:41], s[4:5], 0x28
	v_mov_b32_e32 v12, 0
	s_waitcnt lgkmcnt(0)
	s_mul_i32 s0, s6, s42
	v_lshl_or_b32 v11, s0, 8, v0
	v_cmp_gt_i64_e32 vcc, s[36:37], v[11:12]
	v_mov_b32_e32 v5, 0
	v_lshlrev_b64 v[7:8], 3, v[11:12]
	v_mov_b32_e32 v6, 0
	v_mov_b32_e32 v3, -1
	s_and_saveexec_b64 s[0:1], vcc
	s_cbranch_execz .LBB10_5
; %bb.4:
	v_mov_b32_e32 v4, s29
	v_add_co_u32_e32 v3, vcc, s28, v7
	v_addc_co_u32_e32 v4, vcc, v4, v8, vcc
	global_load_dwordx2 v[3:4], v[3:4], off glc slc
	v_mov_b32_e32 v6, s31
	v_add_co_u32_e32 v5, vcc, s30, v7
	v_addc_co_u32_e32 v6, vcc, v6, v8, vcc
	v_mov_b32_e32 v12, s41
	s_ashr_i32 s35, s34, 31
	s_lshl_b64 s[2:3], s[34:35], 3
	v_mov_b32_e32 v13, s3
	global_load_dwordx2 v[5:6], v[5:6], off glc slc
	s_waitcnt vmcnt(1)
	v_ashrrev_i32_e32 v10, 31, v4
	v_mov_b32_e32 v9, v4
	v_lshlrev_b64 v[9:10], 3, v[9:10]
	v_subrev_u32_e32 v3, s34, v3
	v_add_co_u32_e32 v4, vcc, s40, v9
	v_addc_co_u32_e32 v10, vcc, v12, v10, vcc
	v_subrev_co_u32_e32 v9, vcc, s2, v4
	v_subb_co_u32_e32 v10, vcc, v10, v13, vcc
	global_load_dwordx2 v[9:10], v[9:10], off
	s_waitcnt vmcnt(0)
	v_mul_f64 v[5:6], v[5:6], v[9:10]
.LBB10_5:
	s_or_b64 exec, exec, s[0:1]
	v_lshlrev_b32_e32 v4, 2, v0
	v_or_b32_e32 v13, 0x800, v4
	v_lshlrev_b32_e32 v14, 3, v0
	v_cmp_eq_u32_e64 s[0:1], 0, v0
	v_cmp_ne_u32_e64 s[2:3], 0, v0
	v_add_u32_e32 v15, -4, v13
	ds_write_b32 v4, v3 offset:2048
	ds_write_b64 v14, v[5:6]
	s_waitcnt lgkmcnt(0)
	s_barrier
	s_and_saveexec_b64 s[8:9], s[2:3]
	s_cbranch_execz .LBB10_9
; %bb.6:
	ds_read_b32 v4, v15
	s_waitcnt lgkmcnt(0)
	v_cmp_eq_u32_e32 vcc, v3, v4
	s_and_saveexec_b64 s[10:11], vcc
	s_cbranch_execz .LBB10_8
; %bb.7:
	v_add_u32_e32 v4, -8, v14
	ds_read_b64 v[9:10], v4
	s_waitcnt lgkmcnt(0)
	v_add_f64 v[5:6], v[5:6], v[9:10]
.LBB10_8:
	s_or_b64 exec, exec, s[10:11]
.LBB10_9:
	s_or_b64 exec, exec, s[8:9]
	v_cmp_lt_u32_e64 s[22:23], 1, v0
	v_add_u32_e32 v16, -8, v13
	s_barrier
	ds_write_b64 v14, v[5:6]
	s_waitcnt lgkmcnt(0)
	s_barrier
	s_and_saveexec_b64 s[8:9], s[22:23]
	s_cbranch_execz .LBB10_13
; %bb.10:
	ds_read_b32 v4, v16
	s_waitcnt lgkmcnt(0)
	v_cmp_eq_u32_e32 vcc, v3, v4
	s_and_saveexec_b64 s[10:11], vcc
	s_cbranch_execz .LBB10_12
; %bb.11:
	v_add_u32_e32 v4, -16, v14
	ds_read_b64 v[9:10], v4
	s_waitcnt lgkmcnt(0)
	v_add_f64 v[5:6], v[5:6], v[9:10]
.LBB10_12:
	s_or_b64 exec, exec, s[10:11]
.LBB10_13:
	s_or_b64 exec, exec, s[8:9]
	v_cmp_lt_u32_e64 s[8:9], 3, v0
	v_add_u32_e32 v17, -16, v13
	s_barrier
	ds_write_b64 v14, v[5:6]
	s_waitcnt lgkmcnt(0)
	s_barrier
	s_and_saveexec_b64 s[10:11], s[8:9]
	s_cbranch_execz .LBB10_17
; %bb.14:
	ds_read_b32 v4, v17
	s_waitcnt lgkmcnt(0)
	v_cmp_eq_u32_e32 vcc, v3, v4
	s_and_saveexec_b64 s[12:13], vcc
	s_cbranch_execz .LBB10_16
; %bb.15:
	v_subrev_u32_e32 v4, 32, v14
	ds_read_b64 v[9:10], v4
	s_waitcnt lgkmcnt(0)
	v_add_f64 v[5:6], v[5:6], v[9:10]
.LBB10_16:
	s_or_b64 exec, exec, s[12:13]
.LBB10_17:
	s_or_b64 exec, exec, s[10:11]
	v_cmp_lt_u32_e64 s[10:11], 7, v0
	v_subrev_u32_e32 v18, 32, v13
	s_barrier
	ds_write_b64 v14, v[5:6]
	s_waitcnt lgkmcnt(0)
	s_barrier
	s_and_saveexec_b64 s[12:13], s[10:11]
	s_cbranch_execz .LBB10_21
; %bb.18:
	ds_read_b32 v4, v18
	s_waitcnt lgkmcnt(0)
	v_cmp_eq_u32_e32 vcc, v3, v4
	s_and_saveexec_b64 s[14:15], vcc
	s_cbranch_execz .LBB10_20
; %bb.19:
	v_subrev_u32_e32 v4, 64, v14
	ds_read_b64 v[9:10], v4
	s_waitcnt lgkmcnt(0)
	v_add_f64 v[5:6], v[5:6], v[9:10]
.LBB10_20:
	s_or_b64 exec, exec, s[14:15]
.LBB10_21:
	s_or_b64 exec, exec, s[12:13]
	v_cmp_lt_u32_e64 s[12:13], 15, v0
	v_subrev_u32_e32 v19, 64, v13
	s_barrier
	ds_write_b64 v14, v[5:6]
	s_waitcnt lgkmcnt(0)
	s_barrier
	s_and_saveexec_b64 s[14:15], s[12:13]
	s_cbranch_execz .LBB10_25
; %bb.22:
	ds_read_b32 v4, v19
	s_waitcnt lgkmcnt(0)
	v_cmp_eq_u32_e32 vcc, v3, v4
	s_and_saveexec_b64 s[16:17], vcc
	s_cbranch_execz .LBB10_24
; %bb.23:
	v_add_u32_e32 v4, 0xffffff80, v14
	ds_read_b64 v[9:10], v4
	s_waitcnt lgkmcnt(0)
	v_add_f64 v[5:6], v[5:6], v[9:10]
.LBB10_24:
	s_or_b64 exec, exec, s[16:17]
.LBB10_25:
	s_or_b64 exec, exec, s[14:15]
	v_cmp_lt_u32_e64 s[14:15], 31, v0
	s_barrier
	ds_write_b64 v14, v[5:6]
	s_waitcnt lgkmcnt(0)
	s_barrier
	s_and_saveexec_b64 s[16:17], s[14:15]
	s_cbranch_execz .LBB10_29
; %bb.26:
	v_add_u32_e32 v4, 0xffffff80, v13
	ds_read_b32 v4, v4
	s_waitcnt lgkmcnt(0)
	v_cmp_eq_u32_e32 vcc, v3, v4
	s_and_saveexec_b64 s[18:19], vcc
	s_cbranch_execz .LBB10_28
; %bb.27:
	v_add_u32_e32 v4, 0xffffff00, v14
	ds_read_b64 v[9:10], v4
	s_waitcnt lgkmcnt(0)
	v_add_f64 v[5:6], v[5:6], v[9:10]
.LBB10_28:
	s_or_b64 exec, exec, s[18:19]
.LBB10_29:
	s_or_b64 exec, exec, s[16:17]
	v_cmp_lt_u32_e64 s[16:17], 63, v0
	s_barrier
	ds_write_b64 v14, v[5:6]
	s_waitcnt lgkmcnt(0)
	s_barrier
	s_and_saveexec_b64 s[18:19], s[16:17]
	s_cbranch_execz .LBB10_33
; %bb.30:
	v_add_u32_e32 v4, 0xffffff00, v13
	ds_read_b32 v4, v4
	s_waitcnt lgkmcnt(0)
	v_cmp_eq_u32_e32 vcc, v3, v4
	s_and_saveexec_b64 s[20:21], vcc
	s_cbranch_execz .LBB10_32
; %bb.31:
	v_add_u32_e32 v4, 0xfffffe00, v14
	ds_read_b64 v[9:10], v4
	s_waitcnt lgkmcnt(0)
	v_add_f64 v[5:6], v[5:6], v[9:10]
.LBB10_32:
	s_or_b64 exec, exec, s[20:21]
.LBB10_33:
	s_or_b64 exec, exec, s[18:19]
	s_load_dwordx2 s[38:39], s[4:5], 0x30
	s_movk_i32 s7, 0x7f
	v_cmp_lt_u32_e64 s[18:19], s7, v0
	s_waitcnt lgkmcnt(0)
	s_barrier
	ds_write_b64 v14, v[5:6]
	s_waitcnt lgkmcnt(0)
	s_barrier
	s_and_saveexec_b64 s[20:21], s[18:19]
	s_cbranch_execz .LBB10_37
; %bb.34:
	v_add_u32_e32 v4, 0xfffffe00, v13
	ds_read_b32 v4, v4
	s_waitcnt lgkmcnt(0)
	v_cmp_eq_u32_e32 vcc, v3, v4
	s_and_saveexec_b64 s[24:25], vcc
	s_cbranch_execz .LBB10_36
; %bb.35:
	v_add_u32_e32 v4, 0xfffffc00, v14
	ds_read_b64 v[9:10], v4
	s_waitcnt lgkmcnt(0)
	v_add_f64 v[5:6], v[5:6], v[9:10]
.LBB10_36:
	s_or_b64 exec, exec, s[24:25]
.LBB10_37:
	s_or_b64 exec, exec, s[20:21]
	s_movk_i32 s7, 0xff
	v_cmp_gt_u32_e64 s[20:21], s7, v0
	s_barrier
	ds_write_b64 v14, v[5:6]
	s_waitcnt lgkmcnt(0)
	s_barrier
	s_and_saveexec_b64 s[26:27], s[20:21]
	s_cbranch_execz .LBB10_40
; %bb.38:
	ds_read_b32 v4, v13 offset:4
	v_cmp_lt_i32_e64 s[24:25], -1, v3
	s_waitcnt lgkmcnt(0)
	v_cmp_ne_u32_e32 vcc, v3, v4
	s_and_b64 s[24:25], s[24:25], vcc
	s_and_b64 exec, exec, s[24:25]
	s_cbranch_execz .LBB10_40
; %bb.39:
	v_mov_b32_e32 v4, 0
	v_lshlrev_b64 v[9:10], 3, v[3:4]
	v_mov_b32_e32 v4, s39
	v_add_co_u32_e32 v9, vcc, s38, v9
	v_addc_co_u32_e32 v10, vcc, v4, v10, vcc
	global_load_dwordx2 v[20:21], v[9:10], off
	s_waitcnt vmcnt(0)
	v_fma_f64 v[20:21], v[1:2], v[5:6], v[20:21]
	global_store_dwordx2 v[9:10], v[20:21], off
.LBB10_40:
	s_or_b64 exec, exec, s[26:27]
	s_load_dwordx4 s[24:27], s[4:5], 0x38
	s_cmp_lt_i32 s42, 2
	s_cbranch_scc1 .LBB10_87
; %bb.41:
	s_ashr_i32 s35, s34, 31
	s_lshl_b64 s[4:5], s[34:35], 3
	s_sub_u32 s7, s40, s4
	s_movk_i32 s4, 0x800
	v_add_co_u32_e32 v3, vcc, s4, v7
	v_addc_co_u32_e32 v4, vcc, 0, v8, vcc
	v_mov_b32_e32 v5, s31
	v_add_co_u32_e32 v7, vcc, s30, v3
	v_addc_co_u32_e32 v8, vcc, v5, v4, vcc
	v_mov_b32_e32 v5, s29
	v_add_co_u32_e32 v9, vcc, s28, v3
	v_addc_co_u32_e32 v10, vcc, v5, v4, vcc
	s_movk_i32 s4, 0x100
	v_add_co_u32_e32 v11, vcc, s4, v11
	s_subb_u32 s33, s41, s5
	v_add_u32_e32 v20, -16, v14
	v_subrev_u32_e32 v21, 32, v14
	v_subrev_u32_e32 v22, 64, v14
	v_add_u32_e32 v23, 0xffffff80, v14
	v_add_u32_e32 v24, 0xffffff80, v13
	;; [unrolled: 1-line block ×7, first 2 shown]
	v_addc_co_u32_e64 v12, s[4:5], 0, 0, vcc
	s_add_i32 s35, s42, -1
	s_mov_b32 s29, 0
	v_mov_b32_e32 v4, 0
	s_branch .LBB10_43
.LBB10_42:                              ;   in Loop: Header=BB10_43 Depth=1
	s_or_b64 exec, exec, s[30:31]
	v_add_co_u32_e32 v7, vcc, 0x800, v7
	v_addc_co_u32_e32 v8, vcc, 0, v8, vcc
	v_add_co_u32_e32 v9, vcc, 0x800, v9
	v_addc_co_u32_e32 v10, vcc, 0, v10, vcc
	v_add_co_u32_e32 v11, vcc, 0x100, v11
	s_add_i32 s35, s35, -1
	s_cmp_eq_u32 s35, 0
	v_addc_co_u32_e32 v12, vcc, 0, v12, vcc
	s_cbranch_scc1 .LBB10_87
.LBB10_43:                              ; =>This Inner Loop Header: Depth=1
	v_cmp_gt_i64_e32 vcc, s[36:37], v[11:12]
	v_mov_b32_e32 v5, 0
	v_mov_b32_e32 v6, 0
	v_mov_b32_e32 v3, -1
	s_and_saveexec_b64 s[4:5], vcc
	s_cbranch_execz .LBB10_45
; %bb.44:                               ;   in Loop: Header=BB10_43 Depth=1
	global_load_dwordx2 v[30:31], v[9:10], off glc slc
	global_load_dwordx2 v[5:6], v[7:8], off glc slc
	v_mov_b32_e32 v3, s33
	s_waitcnt vmcnt(1)
	v_ashrrev_i32_e32 v32, 31, v31
	v_lshlrev_b64 v[31:32], 3, v[31:32]
	v_add_co_u32_e32 v31, vcc, s7, v31
	v_addc_co_u32_e32 v32, vcc, v3, v32, vcc
	global_load_dwordx2 v[31:32], v[31:32], off
	v_subrev_u32_e32 v3, s34, v30
	s_waitcnt vmcnt(0)
	v_mul_f64 v[5:6], v[5:6], v[31:32]
.LBB10_45:                              ;   in Loop: Header=BB10_43 Depth=1
	s_or_b64 exec, exec, s[4:5]
	s_and_saveexec_b64 s[4:5], s[0:1]
	s_cbranch_execz .LBB10_52
; %bb.46:                               ;   in Loop: Header=BB10_43 Depth=1
	ds_read_b32 v30, v4 offset:3068
	s_waitcnt lgkmcnt(0)
	v_readfirstlane_b32 s28, v30
	v_cmp_ne_u32_e32 vcc, v3, v30
	s_and_saveexec_b64 s[30:31], vcc
	s_xor_b64 s[30:31], exec, s[30:31]
	s_cbranch_execz .LBB10_49
; %bb.47:                               ;   in Loop: Header=BB10_43 Depth=1
	s_cmp_lt_i32 s28, 0
	s_cbranch_scc1 .LBB10_49
; %bb.48:                               ;   in Loop: Header=BB10_43 Depth=1
	s_lshl_b64 s[40:41], s[28:29], 3
	s_add_u32 s40, s38, s40
	s_addc_u32 s41, s39, s41
	global_load_dwordx2 v[30:31], v4, s[40:41]
	ds_read_b64 v[32:33], v4 offset:2040
	s_waitcnt vmcnt(0) lgkmcnt(0)
	v_fma_f64 v[30:31], v[1:2], v[32:33], v[30:31]
	global_store_dwordx2 v4, v[30:31], s[40:41]
.LBB10_49:                              ;   in Loop: Header=BB10_43 Depth=1
	s_andn2_saveexec_b64 s[30:31], s[30:31]
	s_cbranch_execz .LBB10_51
; %bb.50:                               ;   in Loop: Header=BB10_43 Depth=1
	ds_read_b64 v[30:31], v4 offset:2040
	s_waitcnt lgkmcnt(0)
	v_add_f64 v[5:6], v[5:6], v[30:31]
.LBB10_51:                              ;   in Loop: Header=BB10_43 Depth=1
	s_or_b64 exec, exec, s[30:31]
.LBB10_52:                              ;   in Loop: Header=BB10_43 Depth=1
	s_or_b64 exec, exec, s[4:5]
	s_waitcnt vmcnt(0) lgkmcnt(0)
	s_barrier
	ds_write_b32 v13, v3
	ds_write_b64 v14, v[5:6]
	s_waitcnt lgkmcnt(0)
	s_barrier
	s_and_saveexec_b64 s[4:5], s[2:3]
	s_cbranch_execz .LBB10_56
; %bb.53:                               ;   in Loop: Header=BB10_43 Depth=1
	ds_read_b32 v30, v15
	s_waitcnt lgkmcnt(0)
	v_cmp_eq_u32_e32 vcc, v3, v30
	s_and_saveexec_b64 s[30:31], vcc
	s_cbranch_execz .LBB10_55
; %bb.54:                               ;   in Loop: Header=BB10_43 Depth=1
	v_add_u32_e32 v30, -8, v14
	ds_read_b64 v[30:31], v30
	s_waitcnt lgkmcnt(0)
	v_add_f64 v[5:6], v[5:6], v[30:31]
.LBB10_55:                              ;   in Loop: Header=BB10_43 Depth=1
	s_or_b64 exec, exec, s[30:31]
.LBB10_56:                              ;   in Loop: Header=BB10_43 Depth=1
	s_or_b64 exec, exec, s[4:5]
	s_barrier
	ds_write_b64 v14, v[5:6]
	s_waitcnt lgkmcnt(0)
	s_barrier
	s_and_saveexec_b64 s[4:5], s[22:23]
	s_cbranch_execz .LBB10_60
; %bb.57:                               ;   in Loop: Header=BB10_43 Depth=1
	ds_read_b32 v30, v16
	s_waitcnt lgkmcnt(0)
	v_cmp_eq_u32_e32 vcc, v3, v30
	s_and_saveexec_b64 s[30:31], vcc
	s_cbranch_execz .LBB10_59
; %bb.58:                               ;   in Loop: Header=BB10_43 Depth=1
	ds_read_b64 v[30:31], v20
	s_waitcnt lgkmcnt(0)
	v_add_f64 v[5:6], v[5:6], v[30:31]
.LBB10_59:                              ;   in Loop: Header=BB10_43 Depth=1
	s_or_b64 exec, exec, s[30:31]
.LBB10_60:                              ;   in Loop: Header=BB10_43 Depth=1
	s_or_b64 exec, exec, s[4:5]
	s_barrier
	ds_write_b64 v14, v[5:6]
	s_waitcnt lgkmcnt(0)
	s_barrier
	s_and_saveexec_b64 s[4:5], s[8:9]
	s_cbranch_execz .LBB10_64
; %bb.61:                               ;   in Loop: Header=BB10_43 Depth=1
	ds_read_b32 v30, v17
	s_waitcnt lgkmcnt(0)
	v_cmp_eq_u32_e32 vcc, v3, v30
	s_and_saveexec_b64 s[30:31], vcc
	s_cbranch_execz .LBB10_63
; %bb.62:                               ;   in Loop: Header=BB10_43 Depth=1
	ds_read_b64 v[30:31], v21
	s_waitcnt lgkmcnt(0)
	v_add_f64 v[5:6], v[5:6], v[30:31]
.LBB10_63:                              ;   in Loop: Header=BB10_43 Depth=1
	s_or_b64 exec, exec, s[30:31]
.LBB10_64:                              ;   in Loop: Header=BB10_43 Depth=1
	;; [unrolled: 20-line block ×7, first 2 shown]
	s_or_b64 exec, exec, s[4:5]
	s_barrier
	ds_write_b64 v14, v[5:6]
	s_waitcnt lgkmcnt(0)
	s_barrier
	s_and_saveexec_b64 s[30:31], s[20:21]
	s_cbranch_execz .LBB10_42
; %bb.85:                               ;   in Loop: Header=BB10_43 Depth=1
	ds_read_b32 v30, v13 offset:4
	v_cmp_lt_i32_e64 s[4:5], -1, v3
	s_waitcnt lgkmcnt(0)
	v_cmp_ne_u32_e32 vcc, v3, v30
	s_and_b64 s[4:5], s[4:5], vcc
	s_and_b64 exec, exec, s[4:5]
	s_cbranch_execz .LBB10_42
; %bb.86:                               ;   in Loop: Header=BB10_43 Depth=1
	v_lshlrev_b64 v[30:31], 3, v[3:4]
	v_mov_b32_e32 v32, s39
	v_add_co_u32_e32 v30, vcc, s38, v30
	v_addc_co_u32_e32 v31, vcc, v32, v31, vcc
	global_load_dwordx2 v[32:33], v[30:31], off
	s_waitcnt vmcnt(0)
	v_fma_f64 v[32:33], v[1:2], v[5:6], v[32:33]
	global_store_dwordx2 v[30:31], v[32:33], off
	s_branch .LBB10_42
.LBB10_87:
	s_movk_i32 s0, 0xff
	v_cmp_eq_u32_e32 vcc, s0, v0
	s_and_b64 exec, exec, vcc
	s_cbranch_execz .LBB10_89
; %bb.88:
	v_mul_f64 v[0:1], v[1:2], v[5:6]
	s_mov_b32 s7, 0
	s_lshl_b64 s[0:1], s[6:7], 2
	s_waitcnt lgkmcnt(0)
	s_add_u32 s0, s24, s0
	s_addc_u32 s1, s25, s1
	s_lshl_b64 s[2:3], s[6:7], 3
	v_mov_b32_e32 v2, 0
	s_add_u32 s2, s26, s2
	s_addc_u32 s3, s27, s3
	global_store_dword v2, v3, s[0:1] glc slc
	global_store_dwordx2 v2, v[0:1], s[2:3] glc slc
.LBB10_89:
	s_endpgm
	.section	.rodata,"a",@progbits
	.p2align	6, 0x0
	.amdhsa_kernel _ZN9rocsparseL26coomvn_aos_segmented_loopsILj256EiddddEEvlT0_NS_24const_host_device_scalarIT4_EEPKS1_PKT1_PKT2_PT3_PS1_PS3_21rocsparse_index_base_b
		.amdhsa_group_segment_fixed_size 3072
		.amdhsa_private_segment_fixed_size 0
		.amdhsa_kernarg_size 80
		.amdhsa_user_sgpr_count 6
		.amdhsa_user_sgpr_private_segment_buffer 1
		.amdhsa_user_sgpr_dispatch_ptr 0
		.amdhsa_user_sgpr_queue_ptr 0
		.amdhsa_user_sgpr_kernarg_segment_ptr 1
		.amdhsa_user_sgpr_dispatch_id 0
		.amdhsa_user_sgpr_flat_scratch_init 0
		.amdhsa_user_sgpr_private_segment_size 0
		.amdhsa_uses_dynamic_stack 0
		.amdhsa_system_sgpr_private_segment_wavefront_offset 0
		.amdhsa_system_sgpr_workgroup_id_x 1
		.amdhsa_system_sgpr_workgroup_id_y 0
		.amdhsa_system_sgpr_workgroup_id_z 0
		.amdhsa_system_sgpr_workgroup_info 0
		.amdhsa_system_vgpr_workitem_id 0
		.amdhsa_next_free_vgpr 34
		.amdhsa_next_free_sgpr 43
		.amdhsa_reserve_vcc 1
		.amdhsa_reserve_flat_scratch 0
		.amdhsa_float_round_mode_32 0
		.amdhsa_float_round_mode_16_64 0
		.amdhsa_float_denorm_mode_32 3
		.amdhsa_float_denorm_mode_16_64 3
		.amdhsa_dx10_clamp 1
		.amdhsa_ieee_mode 1
		.amdhsa_fp16_overflow 0
		.amdhsa_exception_fp_ieee_invalid_op 0
		.amdhsa_exception_fp_denorm_src 0
		.amdhsa_exception_fp_ieee_div_zero 0
		.amdhsa_exception_fp_ieee_overflow 0
		.amdhsa_exception_fp_ieee_underflow 0
		.amdhsa_exception_fp_ieee_inexact 0
		.amdhsa_exception_int_div_zero 0
	.end_amdhsa_kernel
	.section	.text._ZN9rocsparseL26coomvn_aos_segmented_loopsILj256EiddddEEvlT0_NS_24const_host_device_scalarIT4_EEPKS1_PKT1_PKT2_PT3_PS1_PS3_21rocsparse_index_base_b,"axG",@progbits,_ZN9rocsparseL26coomvn_aos_segmented_loopsILj256EiddddEEvlT0_NS_24const_host_device_scalarIT4_EEPKS1_PKT1_PKT2_PT3_PS1_PS3_21rocsparse_index_base_b,comdat
.Lfunc_end10:
	.size	_ZN9rocsparseL26coomvn_aos_segmented_loopsILj256EiddddEEvlT0_NS_24const_host_device_scalarIT4_EEPKS1_PKT1_PKT2_PT3_PS1_PS3_21rocsparse_index_base_b, .Lfunc_end10-_ZN9rocsparseL26coomvn_aos_segmented_loopsILj256EiddddEEvlT0_NS_24const_host_device_scalarIT4_EEPKS1_PKT1_PKT2_PT3_PS1_PS3_21rocsparse_index_base_b
                                        ; -- End function
	.set _ZN9rocsparseL26coomvn_aos_segmented_loopsILj256EiddddEEvlT0_NS_24const_host_device_scalarIT4_EEPKS1_PKT1_PKT2_PT3_PS1_PS3_21rocsparse_index_base_b.num_vgpr, 34
	.set _ZN9rocsparseL26coomvn_aos_segmented_loopsILj256EiddddEEvlT0_NS_24const_host_device_scalarIT4_EEPKS1_PKT1_PKT2_PT3_PS1_PS3_21rocsparse_index_base_b.num_agpr, 0
	.set _ZN9rocsparseL26coomvn_aos_segmented_loopsILj256EiddddEEvlT0_NS_24const_host_device_scalarIT4_EEPKS1_PKT1_PKT2_PT3_PS1_PS3_21rocsparse_index_base_b.numbered_sgpr, 43
	.set _ZN9rocsparseL26coomvn_aos_segmented_loopsILj256EiddddEEvlT0_NS_24const_host_device_scalarIT4_EEPKS1_PKT1_PKT2_PT3_PS1_PS3_21rocsparse_index_base_b.num_named_barrier, 0
	.set _ZN9rocsparseL26coomvn_aos_segmented_loopsILj256EiddddEEvlT0_NS_24const_host_device_scalarIT4_EEPKS1_PKT1_PKT2_PT3_PS1_PS3_21rocsparse_index_base_b.private_seg_size, 0
	.set _ZN9rocsparseL26coomvn_aos_segmented_loopsILj256EiddddEEvlT0_NS_24const_host_device_scalarIT4_EEPKS1_PKT1_PKT2_PT3_PS1_PS3_21rocsparse_index_base_b.uses_vcc, 1
	.set _ZN9rocsparseL26coomvn_aos_segmented_loopsILj256EiddddEEvlT0_NS_24const_host_device_scalarIT4_EEPKS1_PKT1_PKT2_PT3_PS1_PS3_21rocsparse_index_base_b.uses_flat_scratch, 0
	.set _ZN9rocsparseL26coomvn_aos_segmented_loopsILj256EiddddEEvlT0_NS_24const_host_device_scalarIT4_EEPKS1_PKT1_PKT2_PT3_PS1_PS3_21rocsparse_index_base_b.has_dyn_sized_stack, 0
	.set _ZN9rocsparseL26coomvn_aos_segmented_loopsILj256EiddddEEvlT0_NS_24const_host_device_scalarIT4_EEPKS1_PKT1_PKT2_PT3_PS1_PS3_21rocsparse_index_base_b.has_recursion, 0
	.set _ZN9rocsparseL26coomvn_aos_segmented_loopsILj256EiddddEEvlT0_NS_24const_host_device_scalarIT4_EEPKS1_PKT1_PKT2_PT3_PS1_PS3_21rocsparse_index_base_b.has_indirect_call, 0
	.section	.AMDGPU.csdata,"",@progbits
; Kernel info:
; codeLenInByte = 2552
; TotalNumSgprs: 47
; NumVgprs: 34
; ScratchSize: 0
; MemoryBound: 1
; FloatMode: 240
; IeeeMode: 1
; LDSByteSize: 3072 bytes/workgroup (compile time only)
; SGPRBlocks: 5
; VGPRBlocks: 8
; NumSGPRsForWavesPerEU: 47
; NumVGPRsForWavesPerEU: 34
; Occupancy: 7
; WaveLimiterHint : 1
; COMPUTE_PGM_RSRC2:SCRATCH_EN: 0
; COMPUTE_PGM_RSRC2:USER_SGPR: 6
; COMPUTE_PGM_RSRC2:TRAP_HANDLER: 0
; COMPUTE_PGM_RSRC2:TGID_X_EN: 1
; COMPUTE_PGM_RSRC2:TGID_Y_EN: 0
; COMPUTE_PGM_RSRC2:TGID_Z_EN: 0
; COMPUTE_PGM_RSRC2:TIDIG_COMP_CNT: 0
	.section	.text._ZN9rocsparseL29coomvn_segmented_loops_reduceILj256EiddEEvT0_NS_24const_host_device_scalarIT2_EEPKS1_PKS3_PT1_b,"axG",@progbits,_ZN9rocsparseL29coomvn_segmented_loops_reduceILj256EiddEEvT0_NS_24const_host_device_scalarIT2_EEPKS1_PKS3_PT1_b,comdat
	.globl	_ZN9rocsparseL29coomvn_segmented_loops_reduceILj256EiddEEvT0_NS_24const_host_device_scalarIT2_EEPKS1_PKS3_PT1_b ; -- Begin function _ZN9rocsparseL29coomvn_segmented_loops_reduceILj256EiddEEvT0_NS_24const_host_device_scalarIT2_EEPKS1_PKS3_PT1_b
	.p2align	8
	.type	_ZN9rocsparseL29coomvn_segmented_loops_reduceILj256EiddEEvT0_NS_24const_host_device_scalarIT2_EEPKS1_PKS3_PT1_b,@function
_ZN9rocsparseL29coomvn_segmented_loops_reduceILj256EiddEEvT0_NS_24const_host_device_scalarIT2_EEPKS1_PKS3_PT1_b: ; @_ZN9rocsparseL29coomvn_segmented_loops_reduceILj256EiddEEvT0_NS_24const_host_device_scalarIT2_EEPKS1_PKS3_PT1_b
; %bb.0:
	s_load_dword s2, s[4:5], 0x28
	s_load_dwordx2 s[0:1], s[4:5], 0x8
	s_waitcnt lgkmcnt(0)
	s_bitcmp1_b32 s2, 0
	s_cselect_b64 s[2:3], -1, 0
	v_mov_b32_e32 v2, s1
	s_and_b64 vcc, exec, s[2:3]
	v_mov_b32_e32 v1, s0
	s_cbranch_vccnz .LBB11_2
; %bb.1:
	v_mov_b32_e32 v2, s1
	v_mov_b32_e32 v1, s0
	flat_load_dwordx2 v[1:2], v[1:2]
.LBB11_2:
	s_waitcnt vmcnt(0) lgkmcnt(0)
	v_cmp_neq_f64_e32 vcc, 0, v[1:2]
	s_and_saveexec_b64 s[0:1], vcc
	s_cbranch_execz .LBB11_44
; %bb.3:
	s_load_dword s28, s[4:5], 0x0
	s_waitcnt lgkmcnt(0)
	s_cmp_lt_i32 s28, 1
	s_cbranch_scc1 .LBB11_44
; %bb.4:
	v_mov_b32_e32 v1, 0x800
	v_subrev_co_u32_e32 v2, vcc, 1, v0
	s_load_dwordx4 s[8:11], s[4:5], 0x10
	s_load_dwordx2 s[6:7], s[4:5], 0x20
	s_xor_b64 s[4:5], vcc, -1
	v_lshl_add_u32 v10, v2, 2, v1
	v_subrev_co_u32_e32 v2, vcc, 2, v0
	s_xor_b64 s[12:13], vcc, -1
	v_lshl_add_u32 v11, v2, 2, v1
	v_subrev_co_u32_e32 v2, vcc, 4, v0
	;; [unrolled: 3-line block ×6, first 2 shown]
	s_movk_i32 s0, 0x80
	v_lshlrev_b32_e32 v9, 3, v0
	s_xor_b64 s[22:23], vcc, -1
	v_lshl_add_u32 v18, v2, 2, v1
	v_subrev_co_u32_e32 v2, vcc, s0, v0
	s_movk_i32 s0, 0xff
	v_lshl_or_b32 v8, v0, 2, v1
	v_add_u32_e32 v15, 0xffffff80, v9
	v_add_u32_e32 v17, 0xffffff00, v9
	;; [unrolled: 1-line block ×3, first 2 shown]
	s_xor_b64 s[24:25], vcc, -1
	v_lshl_add_u32 v20, v2, 2, v1
	v_add_u32_e32 v21, 0xfffffc00, v9
	v_cmp_gt_u32_e32 vcc, s0, v0
	s_mov_b32 s29, 0
	v_mov_b32_e32 v2, 0
	s_branch .LBB11_6
.LBB11_5:                               ;   in Loop: Header=BB11_6 Depth=1
	s_or_b64 exec, exec, s[2:3]
	s_addk_i32 s29, 0x100
	s_cmp_lt_i32 s29, s28
	s_waitcnt vmcnt(0)
	s_barrier
	s_cbranch_scc0 .LBB11_44
.LBB11_6:                               ; =>This Inner Loop Header: Depth=1
	v_add_u32_e32 v5, s29, v0
	v_mov_b32_e32 v3, 0
	v_mov_b32_e32 v6, 0
	v_cmp_gt_i32_e64 s[0:1], s28, v5
	v_mov_b32_e32 v4, 0
	v_mov_b32_e32 v7, 0
	v_mov_b32_e32 v1, -1
	s_and_saveexec_b64 s[2:3], s[0:1]
	s_cbranch_execz .LBB11_8
; %bb.7:                                ;   in Loop: Header=BB11_6 Depth=1
	v_ashrrev_i32_e32 v6, 31, v5
	v_lshlrev_b64 v[22:23], 3, v[5:6]
	s_waitcnt lgkmcnt(0)
	v_mov_b32_e32 v1, s11
	v_add_co_u32_e64 v22, s[0:1], s10, v22
	v_lshlrev_b64 v[5:6], 2, v[5:6]
	v_addc_co_u32_e64 v23, s[0:1], v1, v23, s[0:1]
	v_mov_b32_e32 v1, s9
	v_add_co_u32_e64 v5, s[0:1], s8, v5
	v_addc_co_u32_e64 v6, s[0:1], v1, v6, s[0:1]
	global_load_dword v1, v[5:6], off
	s_nop 0
	global_load_dwordx2 v[6:7], v[22:23], off
.LBB11_8:                               ;   in Loop: Header=BB11_6 Depth=1
	s_or_b64 exec, exec, s[2:3]
	s_waitcnt vmcnt(1)
	ds_write_b32 v8, v1
	s_waitcnt vmcnt(0)
	ds_write_b64 v9, v[6:7]
	s_waitcnt lgkmcnt(0)
	s_barrier
	s_and_saveexec_b64 s[2:3], s[4:5]
	s_cbranch_execz .LBB11_12
; %bb.9:                                ;   in Loop: Header=BB11_6 Depth=1
	ds_read2_b32 v[5:6], v10 offset1:1
	v_mov_b32_e32 v3, 0
	v_mov_b32_e32 v4, 0
	s_waitcnt lgkmcnt(0)
	v_cmp_eq_u32_e64 s[0:1], v6, v5
	s_and_saveexec_b64 s[26:27], s[0:1]
; %bb.10:                               ;   in Loop: Header=BB11_6 Depth=1
	v_add_u32_e32 v1, -8, v9
	ds_read_b64 v[3:4], v1
; %bb.11:                               ;   in Loop: Header=BB11_6 Depth=1
	s_or_b64 exec, exec, s[26:27]
.LBB11_12:                              ;   in Loop: Header=BB11_6 Depth=1
	s_or_b64 exec, exec, s[2:3]
	s_waitcnt lgkmcnt(0)
	s_barrier
	ds_read_b64 v[5:6], v9
	s_waitcnt lgkmcnt(0)
	v_add_f64 v[22:23], v[3:4], v[5:6]
	v_mov_b32_e32 v3, 0
	v_mov_b32_e32 v5, 0
	;; [unrolled: 1-line block ×4, first 2 shown]
	ds_write_b64 v9, v[22:23]
	s_waitcnt lgkmcnt(0)
	s_barrier
	s_and_saveexec_b64 s[2:3], s[12:13]
	s_cbranch_execz .LBB11_16
; %bb.13:                               ;   in Loop: Header=BB11_6 Depth=1
	ds_read_b32 v1, v8
	ds_read_b32 v7, v11
	v_mov_b32_e32 v5, 0
	v_mov_b32_e32 v6, 0
	s_waitcnt lgkmcnt(0)
	v_cmp_eq_u32_e64 s[0:1], v1, v7
	s_and_saveexec_b64 s[26:27], s[0:1]
; %bb.14:                               ;   in Loop: Header=BB11_6 Depth=1
	v_add_u32_e32 v1, -16, v9
	ds_read_b64 v[5:6], v1
; %bb.15:                               ;   in Loop: Header=BB11_6 Depth=1
	s_or_b64 exec, exec, s[26:27]
.LBB11_16:                              ;   in Loop: Header=BB11_6 Depth=1
	s_or_b64 exec, exec, s[2:3]
	s_waitcnt lgkmcnt(0)
	s_barrier
	ds_read_b64 v[22:23], v9
	s_waitcnt lgkmcnt(0)
	v_add_f64 v[5:6], v[5:6], v[22:23]
	ds_write_b64 v9, v[5:6]
	s_waitcnt lgkmcnt(0)
	s_barrier
	s_and_saveexec_b64 s[2:3], s[14:15]
	s_cbranch_execz .LBB11_20
; %bb.17:                               ;   in Loop: Header=BB11_6 Depth=1
	ds_read_b32 v1, v8
	ds_read_b32 v5, v12
	v_mov_b32_e32 v3, 0
	v_mov_b32_e32 v4, 0
	s_waitcnt lgkmcnt(0)
	v_cmp_eq_u32_e64 s[0:1], v1, v5
	s_and_saveexec_b64 s[26:27], s[0:1]
; %bb.18:                               ;   in Loop: Header=BB11_6 Depth=1
	v_subrev_u32_e32 v1, 32, v9
	ds_read_b64 v[3:4], v1
; %bb.19:                               ;   in Loop: Header=BB11_6 Depth=1
	s_or_b64 exec, exec, s[26:27]
.LBB11_20:                              ;   in Loop: Header=BB11_6 Depth=1
	s_or_b64 exec, exec, s[2:3]
	s_waitcnt lgkmcnt(0)
	s_barrier
	ds_read_b64 v[5:6], v9
	s_waitcnt lgkmcnt(0)
	v_add_f64 v[22:23], v[3:4], v[5:6]
	v_mov_b32_e32 v3, 0
	v_mov_b32_e32 v5, 0
	;; [unrolled: 1-line block ×4, first 2 shown]
	ds_write_b64 v9, v[22:23]
	s_waitcnt lgkmcnt(0)
	s_barrier
	s_and_saveexec_b64 s[2:3], s[16:17]
	s_cbranch_execz .LBB11_24
; %bb.21:                               ;   in Loop: Header=BB11_6 Depth=1
	ds_read_b32 v1, v8
	ds_read_b32 v7, v13
	v_mov_b32_e32 v5, 0
	v_mov_b32_e32 v6, 0
	s_waitcnt lgkmcnt(0)
	v_cmp_eq_u32_e64 s[0:1], v1, v7
	s_and_saveexec_b64 s[26:27], s[0:1]
; %bb.22:                               ;   in Loop: Header=BB11_6 Depth=1
	v_subrev_u32_e32 v1, 64, v9
	ds_read_b64 v[5:6], v1
; %bb.23:                               ;   in Loop: Header=BB11_6 Depth=1
	s_or_b64 exec, exec, s[26:27]
.LBB11_24:                              ;   in Loop: Header=BB11_6 Depth=1
	s_or_b64 exec, exec, s[2:3]
	s_waitcnt lgkmcnt(0)
	s_barrier
	ds_read_b64 v[22:23], v9
	s_waitcnt lgkmcnt(0)
	v_add_f64 v[5:6], v[5:6], v[22:23]
	ds_write_b64 v9, v[5:6]
	s_waitcnt lgkmcnt(0)
	s_barrier
	s_and_saveexec_b64 s[2:3], s[18:19]
	s_cbranch_execz .LBB11_28
; %bb.25:                               ;   in Loop: Header=BB11_6 Depth=1
	ds_read_b32 v1, v8
	ds_read_b32 v5, v14
	v_mov_b32_e32 v3, 0
	v_mov_b32_e32 v4, 0
	s_waitcnt lgkmcnt(0)
	v_cmp_eq_u32_e64 s[0:1], v1, v5
	s_and_saveexec_b64 s[26:27], s[0:1]
; %bb.26:                               ;   in Loop: Header=BB11_6 Depth=1
	ds_read_b64 v[3:4], v15
; %bb.27:                               ;   in Loop: Header=BB11_6 Depth=1
	s_or_b64 exec, exec, s[26:27]
.LBB11_28:                              ;   in Loop: Header=BB11_6 Depth=1
	s_or_b64 exec, exec, s[2:3]
	s_waitcnt lgkmcnt(0)
	s_barrier
	ds_read_b64 v[5:6], v9
	s_waitcnt lgkmcnt(0)
	v_add_f64 v[22:23], v[3:4], v[5:6]
	v_mov_b32_e32 v3, 0
	v_mov_b32_e32 v5, 0
	;; [unrolled: 1-line block ×4, first 2 shown]
	ds_write_b64 v9, v[22:23]
	s_waitcnt lgkmcnt(0)
	s_barrier
	s_and_saveexec_b64 s[2:3], s[20:21]
	s_cbranch_execz .LBB11_32
; %bb.29:                               ;   in Loop: Header=BB11_6 Depth=1
	ds_read_b32 v1, v8
	ds_read_b32 v7, v16
	v_mov_b32_e32 v5, 0
	v_mov_b32_e32 v6, 0
	s_waitcnt lgkmcnt(0)
	v_cmp_eq_u32_e64 s[0:1], v1, v7
	s_and_saveexec_b64 s[26:27], s[0:1]
; %bb.30:                               ;   in Loop: Header=BB11_6 Depth=1
	ds_read_b64 v[5:6], v17
; %bb.31:                               ;   in Loop: Header=BB11_6 Depth=1
	s_or_b64 exec, exec, s[26:27]
.LBB11_32:                              ;   in Loop: Header=BB11_6 Depth=1
	s_or_b64 exec, exec, s[2:3]
	s_waitcnt lgkmcnt(0)
	s_barrier
	ds_read_b64 v[22:23], v9
	s_waitcnt lgkmcnt(0)
	v_add_f64 v[5:6], v[5:6], v[22:23]
	ds_write_b64 v9, v[5:6]
	s_waitcnt lgkmcnt(0)
	s_barrier
	s_and_saveexec_b64 s[2:3], s[22:23]
	s_cbranch_execz .LBB11_36
; %bb.33:                               ;   in Loop: Header=BB11_6 Depth=1
	ds_read_b32 v1, v8
	ds_read_b32 v5, v18
	v_mov_b32_e32 v3, 0
	v_mov_b32_e32 v4, 0
	s_waitcnt lgkmcnt(0)
	v_cmp_eq_u32_e64 s[0:1], v1, v5
	s_and_saveexec_b64 s[26:27], s[0:1]
; %bb.34:                               ;   in Loop: Header=BB11_6 Depth=1
	ds_read_b64 v[3:4], v19
; %bb.35:                               ;   in Loop: Header=BB11_6 Depth=1
	s_or_b64 exec, exec, s[26:27]
.LBB11_36:                              ;   in Loop: Header=BB11_6 Depth=1
	s_or_b64 exec, exec, s[2:3]
	s_waitcnt lgkmcnt(0)
	s_barrier
	ds_read_b64 v[5:6], v9
	s_waitcnt lgkmcnt(0)
	v_add_f64 v[5:6], v[3:4], v[5:6]
	v_mov_b32_e32 v3, 0
	v_mov_b32_e32 v4, 0
	ds_write_b64 v9, v[5:6]
	s_waitcnt lgkmcnt(0)
	s_barrier
	s_and_saveexec_b64 s[2:3], s[24:25]
	s_cbranch_execz .LBB11_40
; %bb.37:                               ;   in Loop: Header=BB11_6 Depth=1
	ds_read_b32 v1, v8
	ds_read_b32 v5, v20
	v_mov_b32_e32 v3, 0
	v_mov_b32_e32 v4, 0
	s_waitcnt lgkmcnt(0)
	v_cmp_eq_u32_e64 s[0:1], v1, v5
	s_and_saveexec_b64 s[26:27], s[0:1]
; %bb.38:                               ;   in Loop: Header=BB11_6 Depth=1
	ds_read_b64 v[3:4], v21
; %bb.39:                               ;   in Loop: Header=BB11_6 Depth=1
	s_or_b64 exec, exec, s[26:27]
.LBB11_40:                              ;   in Loop: Header=BB11_6 Depth=1
	s_or_b64 exec, exec, s[2:3]
	s_waitcnt lgkmcnt(0)
	s_barrier
	ds_read_b64 v[5:6], v9
	s_waitcnt lgkmcnt(0)
	v_add_f64 v[3:4], v[3:4], v[5:6]
	ds_write_b64 v9, v[3:4]
	s_waitcnt lgkmcnt(0)
	s_barrier
	ds_read_b32 v1, v8
	v_mov_b32_e32 v3, -1
	s_and_saveexec_b64 s[0:1], vcc
; %bb.41:                               ;   in Loop: Header=BB11_6 Depth=1
	ds_read_b32 v3, v8 offset:4
; %bb.42:                               ;   in Loop: Header=BB11_6 Depth=1
	s_or_b64 exec, exec, s[0:1]
	s_waitcnt lgkmcnt(0)
	v_cmp_ne_u32_e64 s[0:1], v1, v3
	v_cmp_lt_i32_e64 s[2:3], -1, v1
	s_and_b64 s[0:1], s[2:3], s[0:1]
	s_and_saveexec_b64 s[2:3], s[0:1]
	s_cbranch_execz .LBB11_5
; %bb.43:                               ;   in Loop: Header=BB11_6 Depth=1
	v_lshlrev_b64 v[3:4], 3, v[1:2]
	v_mov_b32_e32 v1, s7
	v_add_co_u32_e64 v3, s[0:1], s6, v3
	v_addc_co_u32_e64 v4, s[0:1], v1, v4, s[0:1]
	global_load_dwordx2 v[5:6], v[3:4], off
	ds_read_b64 v[22:23], v9
	s_waitcnt vmcnt(0) lgkmcnt(0)
	v_add_f64 v[5:6], v[5:6], v[22:23]
	global_store_dwordx2 v[3:4], v[5:6], off
	s_branch .LBB11_5
.LBB11_44:
	s_endpgm
	.section	.rodata,"a",@progbits
	.p2align	6, 0x0
	.amdhsa_kernel _ZN9rocsparseL29coomvn_segmented_loops_reduceILj256EiddEEvT0_NS_24const_host_device_scalarIT2_EEPKS1_PKS3_PT1_b
		.amdhsa_group_segment_fixed_size 3072
		.amdhsa_private_segment_fixed_size 0
		.amdhsa_kernarg_size 44
		.amdhsa_user_sgpr_count 6
		.amdhsa_user_sgpr_private_segment_buffer 1
		.amdhsa_user_sgpr_dispatch_ptr 0
		.amdhsa_user_sgpr_queue_ptr 0
		.amdhsa_user_sgpr_kernarg_segment_ptr 1
		.amdhsa_user_sgpr_dispatch_id 0
		.amdhsa_user_sgpr_flat_scratch_init 0
		.amdhsa_user_sgpr_private_segment_size 0
		.amdhsa_uses_dynamic_stack 0
		.amdhsa_system_sgpr_private_segment_wavefront_offset 0
		.amdhsa_system_sgpr_workgroup_id_x 1
		.amdhsa_system_sgpr_workgroup_id_y 0
		.amdhsa_system_sgpr_workgroup_id_z 0
		.amdhsa_system_sgpr_workgroup_info 0
		.amdhsa_system_vgpr_workitem_id 0
		.amdhsa_next_free_vgpr 24
		.amdhsa_next_free_sgpr 30
		.amdhsa_reserve_vcc 1
		.amdhsa_reserve_flat_scratch 0
		.amdhsa_float_round_mode_32 0
		.amdhsa_float_round_mode_16_64 0
		.amdhsa_float_denorm_mode_32 3
		.amdhsa_float_denorm_mode_16_64 3
		.amdhsa_dx10_clamp 1
		.amdhsa_ieee_mode 1
		.amdhsa_fp16_overflow 0
		.amdhsa_exception_fp_ieee_invalid_op 0
		.amdhsa_exception_fp_denorm_src 0
		.amdhsa_exception_fp_ieee_div_zero 0
		.amdhsa_exception_fp_ieee_overflow 0
		.amdhsa_exception_fp_ieee_underflow 0
		.amdhsa_exception_fp_ieee_inexact 0
		.amdhsa_exception_int_div_zero 0
	.end_amdhsa_kernel
	.section	.text._ZN9rocsparseL29coomvn_segmented_loops_reduceILj256EiddEEvT0_NS_24const_host_device_scalarIT2_EEPKS1_PKS3_PT1_b,"axG",@progbits,_ZN9rocsparseL29coomvn_segmented_loops_reduceILj256EiddEEvT0_NS_24const_host_device_scalarIT2_EEPKS1_PKS3_PT1_b,comdat
.Lfunc_end11:
	.size	_ZN9rocsparseL29coomvn_segmented_loops_reduceILj256EiddEEvT0_NS_24const_host_device_scalarIT2_EEPKS1_PKS3_PT1_b, .Lfunc_end11-_ZN9rocsparseL29coomvn_segmented_loops_reduceILj256EiddEEvT0_NS_24const_host_device_scalarIT2_EEPKS1_PKS3_PT1_b
                                        ; -- End function
	.set _ZN9rocsparseL29coomvn_segmented_loops_reduceILj256EiddEEvT0_NS_24const_host_device_scalarIT2_EEPKS1_PKS3_PT1_b.num_vgpr, 24
	.set _ZN9rocsparseL29coomvn_segmented_loops_reduceILj256EiddEEvT0_NS_24const_host_device_scalarIT2_EEPKS1_PKS3_PT1_b.num_agpr, 0
	.set _ZN9rocsparseL29coomvn_segmented_loops_reduceILj256EiddEEvT0_NS_24const_host_device_scalarIT2_EEPKS1_PKS3_PT1_b.numbered_sgpr, 30
	.set _ZN9rocsparseL29coomvn_segmented_loops_reduceILj256EiddEEvT0_NS_24const_host_device_scalarIT2_EEPKS1_PKS3_PT1_b.num_named_barrier, 0
	.set _ZN9rocsparseL29coomvn_segmented_loops_reduceILj256EiddEEvT0_NS_24const_host_device_scalarIT2_EEPKS1_PKS3_PT1_b.private_seg_size, 0
	.set _ZN9rocsparseL29coomvn_segmented_loops_reduceILj256EiddEEvT0_NS_24const_host_device_scalarIT2_EEPKS1_PKS3_PT1_b.uses_vcc, 1
	.set _ZN9rocsparseL29coomvn_segmented_loops_reduceILj256EiddEEvT0_NS_24const_host_device_scalarIT2_EEPKS1_PKS3_PT1_b.uses_flat_scratch, 0
	.set _ZN9rocsparseL29coomvn_segmented_loops_reduceILj256EiddEEvT0_NS_24const_host_device_scalarIT2_EEPKS1_PKS3_PT1_b.has_dyn_sized_stack, 0
	.set _ZN9rocsparseL29coomvn_segmented_loops_reduceILj256EiddEEvT0_NS_24const_host_device_scalarIT2_EEPKS1_PKS3_PT1_b.has_recursion, 0
	.set _ZN9rocsparseL29coomvn_segmented_loops_reduceILj256EiddEEvT0_NS_24const_host_device_scalarIT2_EEPKS1_PKS3_PT1_b.has_indirect_call, 0
	.section	.AMDGPU.csdata,"",@progbits
; Kernel info:
; codeLenInByte = 1560
; TotalNumSgprs: 34
; NumVgprs: 24
; ScratchSize: 0
; MemoryBound: 0
; FloatMode: 240
; IeeeMode: 1
; LDSByteSize: 3072 bytes/workgroup (compile time only)
; SGPRBlocks: 4
; VGPRBlocks: 5
; NumSGPRsForWavesPerEU: 34
; NumVGPRsForWavesPerEU: 24
; Occupancy: 10
; WaveLimiterHint : 0
; COMPUTE_PGM_RSRC2:SCRATCH_EN: 0
; COMPUTE_PGM_RSRC2:USER_SGPR: 6
; COMPUTE_PGM_RSRC2:TRAP_HANDLER: 0
; COMPUTE_PGM_RSRC2:TGID_X_EN: 1
; COMPUTE_PGM_RSRC2:TGID_Y_EN: 0
; COMPUTE_PGM_RSRC2:TGID_Z_EN: 0
; COMPUTE_PGM_RSRC2:TIDIG_COMP_CNT: 0
	.section	.text._ZN9rocsparseL23coomvn_aos_atomic_loopsILj256ELj1ElddddEEvlNS_24const_host_device_scalarIT5_EEPKT1_PKT2_PKT3_PT4_21rocsparse_index_base_b,"axG",@progbits,_ZN9rocsparseL23coomvn_aos_atomic_loopsILj256ELj1ElddddEEvlNS_24const_host_device_scalarIT5_EEPKT1_PKT2_PKT3_PT4_21rocsparse_index_base_b,comdat
	.globl	_ZN9rocsparseL23coomvn_aos_atomic_loopsILj256ELj1ElddddEEvlNS_24const_host_device_scalarIT5_EEPKT1_PKT2_PKT3_PT4_21rocsparse_index_base_b ; -- Begin function _ZN9rocsparseL23coomvn_aos_atomic_loopsILj256ELj1ElddddEEvlNS_24const_host_device_scalarIT5_EEPKT1_PKT2_PKT3_PT4_21rocsparse_index_base_b
	.p2align	8
	.type	_ZN9rocsparseL23coomvn_aos_atomic_loopsILj256ELj1ElddddEEvlNS_24const_host_device_scalarIT5_EEPKT1_PKT2_PKT3_PT4_21rocsparse_index_base_b,@function
_ZN9rocsparseL23coomvn_aos_atomic_loopsILj256ELj1ElddddEEvlNS_24const_host_device_scalarIT5_EEPKT1_PKT2_PKT3_PT4_21rocsparse_index_base_b: ; @_ZN9rocsparseL23coomvn_aos_atomic_loopsILj256ELj1ElddddEEvlNS_24const_host_device_scalarIT5_EEPKT1_PKT2_PKT3_PT4_21rocsparse_index_base_b
; %bb.0:
	s_load_dwordx2 s[8:9], s[4:5], 0x30
	s_load_dwordx4 s[0:3], s[4:5], 0x0
	s_waitcnt lgkmcnt(0)
	s_bitcmp1_b32 s9, 0
	s_cselect_b64 s[10:11], -1, 0
	v_mov_b32_e32 v6, s3
	s_and_b64 vcc, exec, s[10:11]
	v_mov_b32_e32 v5, s2
	s_cbranch_vccnz .LBB12_2
; %bb.1:
	v_mov_b32_e32 v1, s2
	v_mov_b32_e32 v2, s3
	flat_load_dwordx2 v[5:6], v[1:2]
.LBB12_2:
	s_waitcnt vmcnt(0) lgkmcnt(0)
	v_cmp_neq_f64_e32 vcc, 0, v[5:6]
	s_and_saveexec_b64 s[2:3], vcc
	s_cbranch_execz .LBB12_44
; %bb.3:
	v_lshl_or_b32 v1, s6, 8, v0
	v_mov_b32_e32 v2, 0
	v_cmp_gt_i64_e32 vcc, s[0:1], v[1:2]
	v_mov_b32_e32 v9, -1
	v_mov_b32_e32 v7, 0
	v_mov_b32_e32 v10, -1
	v_mov_b32_e32 v8, 0
	s_and_saveexec_b64 s[0:1], vcc
	s_cbranch_execz .LBB12_5
; %bb.4:
	s_load_dwordx4 s[12:15], s[4:5], 0x10
	s_load_dwordx2 s[2:3], s[4:5], 0x20
	v_lshlrev_b64 v[3:4], 4, v[1:2]
	v_lshlrev_b64 v[1:2], 3, v[1:2]
	s_waitcnt lgkmcnt(0)
	v_mov_b32_e32 v7, s13
	v_add_co_u32_e32 v3, vcc, s12, v3
	v_addc_co_u32_e32 v4, vcc, v7, v4, vcc
	global_load_dwordx4 v[9:12], v[3:4], off glc slc
	v_mov_b32_e32 v3, s15
	v_add_co_u32_e32 v1, vcc, s14, v1
	v_addc_co_u32_e32 v2, vcc, v3, v2, vcc
	v_mov_b32_e32 v7, s3
	global_load_dwordx2 v[1:2], v[1:2], off glc slc
	s_waitcnt vmcnt(1)
	v_subrev_co_u32_e32 v3, vcc, s8, v11
	v_subbrev_co_u32_e32 v4, vcc, 0, v12, vcc
	v_lshlrev_b64 v[3:4], 3, v[3:4]
	v_add_co_u32_e32 v3, vcc, s2, v3
	v_addc_co_u32_e32 v4, vcc, v7, v4, vcc
	global_load_dwordx2 v[3:4], v[3:4], off
	v_subrev_co_u32_e32 v9, vcc, s8, v9
	v_subbrev_co_u32_e32 v10, vcc, 0, v10, vcc
	s_waitcnt vmcnt(0)
	v_mul_f64 v[7:8], v[1:2], v[3:4]
.LBB12_5:
	s_or_b64 exec, exec, s[0:1]
	v_lshlrev_b32_e32 v1, 3, v0
	v_or_b32_e32 v2, 0x800, v1
	v_cmp_ne_u32_e32 vcc, 0, v0
	ds_write2st64_b64 v1, v[9:10], v[7:8] offset1:4
	s_waitcnt lgkmcnt(0)
	s_barrier
	s_and_saveexec_b64 s[0:1], vcc
	s_cbranch_execz .LBB12_9
; %bb.6:
	v_add_u32_e32 v3, -8, v1
	ds_read_b64 v[3:4], v3
	s_waitcnt lgkmcnt(0)
	v_cmp_eq_u64_e32 vcc, v[9:10], v[3:4]
	s_and_saveexec_b64 s[2:3], vcc
	s_cbranch_execz .LBB12_8
; %bb.7:
	v_add_u32_e32 v3, -8, v2
	ds_read_b64 v[3:4], v3
	s_waitcnt lgkmcnt(0)
	v_add_f64 v[7:8], v[7:8], v[3:4]
.LBB12_8:
	s_or_b64 exec, exec, s[2:3]
.LBB12_9:
	s_or_b64 exec, exec, s[0:1]
	v_cmp_lt_u32_e32 vcc, 1, v0
	s_barrier
	ds_write_b64 v2, v[7:8]
	s_waitcnt lgkmcnt(0)
	s_barrier
	s_and_saveexec_b64 s[0:1], vcc
	s_cbranch_execz .LBB12_13
; %bb.10:
	v_add_u32_e32 v3, -16, v1
	ds_read_b64 v[3:4], v3
	s_waitcnt lgkmcnt(0)
	v_cmp_eq_u64_e32 vcc, v[9:10], v[3:4]
	s_and_saveexec_b64 s[2:3], vcc
	s_cbranch_execz .LBB12_12
; %bb.11:
	v_add_u32_e32 v3, -16, v2
	ds_read_b64 v[3:4], v3
	s_waitcnt lgkmcnt(0)
	v_add_f64 v[7:8], v[7:8], v[3:4]
.LBB12_12:
	s_or_b64 exec, exec, s[2:3]
.LBB12_13:
	s_or_b64 exec, exec, s[0:1]
	v_cmp_lt_u32_e32 vcc, 3, v0
	s_barrier
	ds_write_b64 v2, v[7:8]
	s_waitcnt lgkmcnt(0)
	s_barrier
	s_and_saveexec_b64 s[0:1], vcc
	s_cbranch_execz .LBB12_17
; %bb.14:
	v_subrev_u32_e32 v3, 32, v1
	ds_read_b64 v[3:4], v3
	s_waitcnt lgkmcnt(0)
	v_cmp_eq_u64_e32 vcc, v[9:10], v[3:4]
	s_and_saveexec_b64 s[2:3], vcc
	s_cbranch_execz .LBB12_16
; %bb.15:
	v_subrev_u32_e32 v3, 32, v2
	ds_read_b64 v[3:4], v3
	s_waitcnt lgkmcnt(0)
	v_add_f64 v[7:8], v[7:8], v[3:4]
.LBB12_16:
	s_or_b64 exec, exec, s[2:3]
.LBB12_17:
	s_or_b64 exec, exec, s[0:1]
	v_cmp_lt_u32_e32 vcc, 7, v0
	s_barrier
	ds_write_b64 v2, v[7:8]
	s_waitcnt lgkmcnt(0)
	s_barrier
	s_and_saveexec_b64 s[0:1], vcc
	s_cbranch_execz .LBB12_21
; %bb.18:
	v_subrev_u32_e32 v3, 64, v1
	ds_read_b64 v[3:4], v3
	s_waitcnt lgkmcnt(0)
	v_cmp_eq_u64_e32 vcc, v[9:10], v[3:4]
	s_and_saveexec_b64 s[2:3], vcc
	s_cbranch_execz .LBB12_20
; %bb.19:
	v_subrev_u32_e32 v3, 64, v2
	ds_read_b64 v[3:4], v3
	s_waitcnt lgkmcnt(0)
	v_add_f64 v[7:8], v[7:8], v[3:4]
.LBB12_20:
	s_or_b64 exec, exec, s[2:3]
.LBB12_21:
	s_or_b64 exec, exec, s[0:1]
	v_cmp_lt_u32_e32 vcc, 15, v0
	s_barrier
	ds_write_b64 v2, v[7:8]
	s_waitcnt lgkmcnt(0)
	s_barrier
	s_and_saveexec_b64 s[0:1], vcc
	s_cbranch_execz .LBB12_25
; %bb.22:
	v_add_u32_e32 v3, 0xffffff80, v1
	ds_read_b64 v[3:4], v3
	s_waitcnt lgkmcnt(0)
	v_cmp_eq_u64_e32 vcc, v[9:10], v[3:4]
	s_and_saveexec_b64 s[2:3], vcc
	s_cbranch_execz .LBB12_24
; %bb.23:
	v_add_u32_e32 v3, 0xffffff80, v2
	ds_read_b64 v[3:4], v3
	s_waitcnt lgkmcnt(0)
	v_add_f64 v[7:8], v[7:8], v[3:4]
.LBB12_24:
	s_or_b64 exec, exec, s[2:3]
.LBB12_25:
	s_or_b64 exec, exec, s[0:1]
	v_cmp_lt_u32_e32 vcc, 31, v0
	s_barrier
	ds_write_b64 v2, v[7:8]
	s_waitcnt lgkmcnt(0)
	s_barrier
	s_and_saveexec_b64 s[0:1], vcc
	s_cbranch_execz .LBB12_29
; %bb.26:
	v_add_u32_e32 v3, 0xffffff00, v1
	ds_read_b64 v[3:4], v3
	s_waitcnt lgkmcnt(0)
	v_cmp_eq_u64_e32 vcc, v[9:10], v[3:4]
	s_and_saveexec_b64 s[2:3], vcc
	s_cbranch_execz .LBB12_28
; %bb.27:
	v_add_u32_e32 v3, 0xffffff00, v2
	ds_read_b64 v[3:4], v3
	s_waitcnt lgkmcnt(0)
	v_add_f64 v[7:8], v[7:8], v[3:4]
.LBB12_28:
	s_or_b64 exec, exec, s[2:3]
.LBB12_29:
	;; [unrolled: 23-line block ×3, first 2 shown]
	s_or_b64 exec, exec, s[0:1]
	s_load_dwordx2 s[2:3], s[4:5], 0x28
	s_movk_i32 s0, 0x7f
	v_cmp_lt_u32_e32 vcc, s0, v0
	s_waitcnt lgkmcnt(0)
	s_barrier
	ds_write_b64 v2, v[7:8]
	s_waitcnt lgkmcnt(0)
	s_barrier
	s_and_saveexec_b64 s[0:1], vcc
	s_cbranch_execz .LBB12_37
; %bb.34:
	v_add_u32_e32 v3, 0xfffffc00, v1
	ds_read_b64 v[3:4], v3
	s_waitcnt lgkmcnt(0)
	v_cmp_eq_u64_e32 vcc, v[9:10], v[3:4]
	s_and_saveexec_b64 s[4:5], vcc
	s_cbranch_execz .LBB12_36
; %bb.35:
	v_add_u32_e32 v3, 0xfffffc00, v2
	ds_read_b64 v[3:4], v3
	s_waitcnt lgkmcnt(0)
	v_add_f64 v[7:8], v[7:8], v[3:4]
.LBB12_36:
	s_or_b64 exec, exec, s[4:5]
.LBB12_37:
	s_or_b64 exec, exec, s[0:1]
	s_movk_i32 s6, 0xff
	v_cmp_gt_u32_e32 vcc, s6, v0
	s_barrier
	ds_write_b64 v2, v[7:8]
	s_waitcnt lgkmcnt(0)
	s_barrier
	s_and_saveexec_b64 s[4:5], vcc
	s_cbranch_execz .LBB12_41
; %bb.38:
	ds_read_b64 v[1:2], v1 offset:8
	v_cmp_lt_i64_e64 s[0:1], -1, v[9:10]
	s_waitcnt lgkmcnt(0)
	v_cmp_ne_u64_e32 vcc, v[9:10], v[1:2]
	s_and_b64 s[0:1], s[0:1], vcc
	s_and_b64 exec, exec, s[0:1]
	s_cbranch_execz .LBB12_41
; %bb.39:
	v_lshlrev_b64 v[1:2], 3, v[9:10]
	v_mov_b32_e32 v3, s3
	v_add_co_u32_e32 v11, vcc, s2, v1
	v_addc_co_u32_e32 v12, vcc, v3, v2, vcc
	global_load_dwordx2 v[3:4], v[11:12], off
	v_mul_f64 v[13:14], v[5:6], v[7:8]
	s_mov_b64 s[0:1], 0
.LBB12_40:                              ; =>This Inner Loop Header: Depth=1
	s_waitcnt vmcnt(0)
	v_add_f64 v[1:2], v[3:4], v[13:14]
	global_atomic_cmpswap_x2 v[1:2], v[11:12], v[1:4], off glc
	s_waitcnt vmcnt(0)
	v_cmp_eq_u64_e32 vcc, v[1:2], v[3:4]
	v_mov_b32_e32 v4, v2
	s_or_b64 s[0:1], vcc, s[0:1]
	v_mov_b32_e32 v3, v1
	s_andn2_b64 exec, exec, s[0:1]
	s_cbranch_execnz .LBB12_40
.LBB12_41:
	s_or_b64 exec, exec, s[4:5]
	v_cmp_lt_i64_e32 vcc, -1, v[9:10]
	v_cmp_eq_u32_e64 s[0:1], s6, v0
	s_and_b64 s[0:1], s[0:1], vcc
	s_and_b64 exec, exec, s[0:1]
	s_cbranch_execz .LBB12_44
; %bb.42:
	v_lshlrev_b64 v[0:1], 3, v[9:10]
	v_mov_b32_e32 v2, s3
	v_add_co_u32_e32 v9, vcc, s2, v0
	v_addc_co_u32_e32 v10, vcc, v2, v1, vcc
	global_load_dwordx2 v[2:3], v[9:10], off
	v_mul_f64 v[4:5], v[5:6], v[7:8]
	s_mov_b64 s[0:1], 0
.LBB12_43:                              ; =>This Inner Loop Header: Depth=1
	s_waitcnt vmcnt(0)
	v_add_f64 v[0:1], v[2:3], v[4:5]
	global_atomic_cmpswap_x2 v[0:1], v[9:10], v[0:3], off glc
	s_waitcnt vmcnt(0)
	v_cmp_eq_u64_e32 vcc, v[0:1], v[2:3]
	v_mov_b32_e32 v3, v1
	s_or_b64 s[0:1], vcc, s[0:1]
	v_mov_b32_e32 v2, v0
	s_andn2_b64 exec, exec, s[0:1]
	s_cbranch_execnz .LBB12_43
.LBB12_44:
	s_endpgm
	.section	.rodata,"a",@progbits
	.p2align	6, 0x0
	.amdhsa_kernel _ZN9rocsparseL23coomvn_aos_atomic_loopsILj256ELj1ElddddEEvlNS_24const_host_device_scalarIT5_EEPKT1_PKT2_PKT3_PT4_21rocsparse_index_base_b
		.amdhsa_group_segment_fixed_size 4096
		.amdhsa_private_segment_fixed_size 0
		.amdhsa_kernarg_size 56
		.amdhsa_user_sgpr_count 6
		.amdhsa_user_sgpr_private_segment_buffer 1
		.amdhsa_user_sgpr_dispatch_ptr 0
		.amdhsa_user_sgpr_queue_ptr 0
		.amdhsa_user_sgpr_kernarg_segment_ptr 1
		.amdhsa_user_sgpr_dispatch_id 0
		.amdhsa_user_sgpr_flat_scratch_init 0
		.amdhsa_user_sgpr_private_segment_size 0
		.amdhsa_uses_dynamic_stack 0
		.amdhsa_system_sgpr_private_segment_wavefront_offset 0
		.amdhsa_system_sgpr_workgroup_id_x 1
		.amdhsa_system_sgpr_workgroup_id_y 0
		.amdhsa_system_sgpr_workgroup_id_z 0
		.amdhsa_system_sgpr_workgroup_info 0
		.amdhsa_system_vgpr_workitem_id 0
		.amdhsa_next_free_vgpr 15
		.amdhsa_next_free_sgpr 16
		.amdhsa_reserve_vcc 1
		.amdhsa_reserve_flat_scratch 0
		.amdhsa_float_round_mode_32 0
		.amdhsa_float_round_mode_16_64 0
		.amdhsa_float_denorm_mode_32 3
		.amdhsa_float_denorm_mode_16_64 3
		.amdhsa_dx10_clamp 1
		.amdhsa_ieee_mode 1
		.amdhsa_fp16_overflow 0
		.amdhsa_exception_fp_ieee_invalid_op 0
		.amdhsa_exception_fp_denorm_src 0
		.amdhsa_exception_fp_ieee_div_zero 0
		.amdhsa_exception_fp_ieee_overflow 0
		.amdhsa_exception_fp_ieee_underflow 0
		.amdhsa_exception_fp_ieee_inexact 0
		.amdhsa_exception_int_div_zero 0
	.end_amdhsa_kernel
	.section	.text._ZN9rocsparseL23coomvn_aos_atomic_loopsILj256ELj1ElddddEEvlNS_24const_host_device_scalarIT5_EEPKT1_PKT2_PKT3_PT4_21rocsparse_index_base_b,"axG",@progbits,_ZN9rocsparseL23coomvn_aos_atomic_loopsILj256ELj1ElddddEEvlNS_24const_host_device_scalarIT5_EEPKT1_PKT2_PKT3_PT4_21rocsparse_index_base_b,comdat
.Lfunc_end12:
	.size	_ZN9rocsparseL23coomvn_aos_atomic_loopsILj256ELj1ElddddEEvlNS_24const_host_device_scalarIT5_EEPKT1_PKT2_PKT3_PT4_21rocsparse_index_base_b, .Lfunc_end12-_ZN9rocsparseL23coomvn_aos_atomic_loopsILj256ELj1ElddddEEvlNS_24const_host_device_scalarIT5_EEPKT1_PKT2_PKT3_PT4_21rocsparse_index_base_b
                                        ; -- End function
	.set _ZN9rocsparseL23coomvn_aos_atomic_loopsILj256ELj1ElddddEEvlNS_24const_host_device_scalarIT5_EEPKT1_PKT2_PKT3_PT4_21rocsparse_index_base_b.num_vgpr, 15
	.set _ZN9rocsparseL23coomvn_aos_atomic_loopsILj256ELj1ElddddEEvlNS_24const_host_device_scalarIT5_EEPKT1_PKT2_PKT3_PT4_21rocsparse_index_base_b.num_agpr, 0
	.set _ZN9rocsparseL23coomvn_aos_atomic_loopsILj256ELj1ElddddEEvlNS_24const_host_device_scalarIT5_EEPKT1_PKT2_PKT3_PT4_21rocsparse_index_base_b.numbered_sgpr, 16
	.set _ZN9rocsparseL23coomvn_aos_atomic_loopsILj256ELj1ElddddEEvlNS_24const_host_device_scalarIT5_EEPKT1_PKT2_PKT3_PT4_21rocsparse_index_base_b.num_named_barrier, 0
	.set _ZN9rocsparseL23coomvn_aos_atomic_loopsILj256ELj1ElddddEEvlNS_24const_host_device_scalarIT5_EEPKT1_PKT2_PKT3_PT4_21rocsparse_index_base_b.private_seg_size, 0
	.set _ZN9rocsparseL23coomvn_aos_atomic_loopsILj256ELj1ElddddEEvlNS_24const_host_device_scalarIT5_EEPKT1_PKT2_PKT3_PT4_21rocsparse_index_base_b.uses_vcc, 1
	.set _ZN9rocsparseL23coomvn_aos_atomic_loopsILj256ELj1ElddddEEvlNS_24const_host_device_scalarIT5_EEPKT1_PKT2_PKT3_PT4_21rocsparse_index_base_b.uses_flat_scratch, 0
	.set _ZN9rocsparseL23coomvn_aos_atomic_loopsILj256ELj1ElddddEEvlNS_24const_host_device_scalarIT5_EEPKT1_PKT2_PKT3_PT4_21rocsparse_index_base_b.has_dyn_sized_stack, 0
	.set _ZN9rocsparseL23coomvn_aos_atomic_loopsILj256ELj1ElddddEEvlNS_24const_host_device_scalarIT5_EEPKT1_PKT2_PKT3_PT4_21rocsparse_index_base_b.has_recursion, 0
	.set _ZN9rocsparseL23coomvn_aos_atomic_loopsILj256ELj1ElddddEEvlNS_24const_host_device_scalarIT5_EEPKT1_PKT2_PKT3_PT4_21rocsparse_index_base_b.has_indirect_call, 0
	.section	.AMDGPU.csdata,"",@progbits
; Kernel info:
; codeLenInByte = 1328
; TotalNumSgprs: 20
; NumVgprs: 15
; ScratchSize: 0
; MemoryBound: 1
; FloatMode: 240
; IeeeMode: 1
; LDSByteSize: 4096 bytes/workgroup (compile time only)
; SGPRBlocks: 2
; VGPRBlocks: 3
; NumSGPRsForWavesPerEU: 20
; NumVGPRsForWavesPerEU: 15
; Occupancy: 10
; WaveLimiterHint : 1
; COMPUTE_PGM_RSRC2:SCRATCH_EN: 0
; COMPUTE_PGM_RSRC2:USER_SGPR: 6
; COMPUTE_PGM_RSRC2:TRAP_HANDLER: 0
; COMPUTE_PGM_RSRC2:TGID_X_EN: 1
; COMPUTE_PGM_RSRC2:TGID_Y_EN: 0
; COMPUTE_PGM_RSRC2:TGID_Z_EN: 0
; COMPUTE_PGM_RSRC2:TIDIG_COMP_CNT: 0
	.section	.text._ZN9rocsparseL17coomvt_aos_kernelILj1024ElddddEEv20rocsparse_operation_lNS_24const_host_device_scalarIT4_EEPKT0_PKT1_PKT2_PT3_21rocsparse_index_base_b,"axG",@progbits,_ZN9rocsparseL17coomvt_aos_kernelILj1024ElddddEEv20rocsparse_operation_lNS_24const_host_device_scalarIT4_EEPKT0_PKT1_PKT2_PT3_21rocsparse_index_base_b,comdat
	.globl	_ZN9rocsparseL17coomvt_aos_kernelILj1024ElddddEEv20rocsparse_operation_lNS_24const_host_device_scalarIT4_EEPKT0_PKT1_PKT2_PT3_21rocsparse_index_base_b ; -- Begin function _ZN9rocsparseL17coomvt_aos_kernelILj1024ElddddEEv20rocsparse_operation_lNS_24const_host_device_scalarIT4_EEPKT0_PKT1_PKT2_PT3_21rocsparse_index_base_b
	.p2align	8
	.type	_ZN9rocsparseL17coomvt_aos_kernelILj1024ElddddEEv20rocsparse_operation_lNS_24const_host_device_scalarIT4_EEPKT0_PKT1_PKT2_PT3_21rocsparse_index_base_b,@function
_ZN9rocsparseL17coomvt_aos_kernelILj1024ElddddEEv20rocsparse_operation_lNS_24const_host_device_scalarIT4_EEPKT0_PKT1_PKT2_PT3_21rocsparse_index_base_b: ; @_ZN9rocsparseL17coomvt_aos_kernelILj1024ElddddEEv20rocsparse_operation_lNS_24const_host_device_scalarIT4_EEPKT0_PKT1_PKT2_PT3_21rocsparse_index_base_b
; %bb.0:
	s_load_dwordx2 s[16:17], s[4:5], 0x38
	s_load_dwordx4 s[0:3], s[4:5], 0x8
	s_waitcnt lgkmcnt(0)
	s_bitcmp1_b32 s17, 0
	s_cselect_b64 s[8:9], -1, 0
	v_mov_b32_e32 v5, s3
	s_and_b64 vcc, exec, s[8:9]
	v_mov_b32_e32 v4, s2
	s_cbranch_vccnz .LBB13_2
; %bb.1:
	v_mov_b32_e32 v1, s2
	v_mov_b32_e32 v2, s3
	flat_load_dwordx2 v[4:5], v[1:2]
.LBB13_2:
	s_waitcnt vmcnt(0) lgkmcnt(0)
	v_cmp_neq_f64_e32 vcc, 0, v[4:5]
	s_and_saveexec_b64 s[2:3], vcc
	s_cbranch_execz .LBB13_6
; %bb.3:
	s_load_dword s2, s[4:5], 0x4c
	v_mov_b32_e32 v1, 0
	s_waitcnt lgkmcnt(0)
	s_and_b32 s2, s2, 0xffff
	s_mul_i32 s6, s6, s2
	v_add_u32_e32 v0, s6, v0
	v_cmp_gt_i64_e32 vcc, s[0:1], v[0:1]
	s_and_b64 exec, exec, vcc
	s_cbranch_execz .LBB13_6
; %bb.4:
	s_load_dwordx8 s[8:15], s[4:5], 0x18
	v_lshlrev_b64 v[2:3], 4, v[0:1]
	v_lshlrev_b64 v[0:1], 3, v[0:1]
	s_mov_b64 s[0:1], 0
	s_waitcnt lgkmcnt(0)
	v_mov_b32_e32 v6, s9
	v_add_co_u32_e32 v2, vcc, s8, v2
	v_addc_co_u32_e32 v3, vcc, v6, v3, vcc
	global_load_dwordx4 v[6:9], v[2:3], off
	v_mov_b32_e32 v2, s11
	v_add_co_u32_e32 v0, vcc, s10, v0
	v_addc_co_u32_e32 v1, vcc, v2, v1, vcc
	global_load_dwordx2 v[0:1], v[0:1], off
	v_mov_b32_e32 v10, s13
	s_waitcnt vmcnt(1)
	v_subrev_co_u32_e32 v2, vcc, s16, v6
	v_subbrev_co_u32_e32 v3, vcc, 0, v7, vcc
	v_lshlrev_b64 v[2:3], 3, v[2:3]
	v_mov_b32_e32 v7, s15
	v_add_co_u32_e32 v2, vcc, s12, v2
	v_addc_co_u32_e32 v3, vcc, v10, v3, vcc
	global_load_dwordx2 v[10:11], v[2:3], off
	v_subrev_co_u32_e32 v2, vcc, s16, v8
	v_subbrev_co_u32_e32 v3, vcc, 0, v9, vcc
	v_lshlrev_b64 v[2:3], 3, v[2:3]
	s_waitcnt vmcnt(1)
	v_mul_f64 v[0:1], v[4:5], v[0:1]
	v_add_co_u32_e32 v6, vcc, s14, v2
	v_addc_co_u32_e32 v7, vcc, v7, v3, vcc
	global_load_dwordx2 v[2:3], v[6:7], off
	s_waitcnt vmcnt(1)
	v_mul_f64 v[4:5], v[0:1], v[10:11]
.LBB13_5:                               ; =>This Inner Loop Header: Depth=1
	s_waitcnt vmcnt(0)
	v_add_f64 v[0:1], v[2:3], v[4:5]
	global_atomic_cmpswap_x2 v[0:1], v[6:7], v[0:3], off glc
	s_waitcnt vmcnt(0)
	v_cmp_eq_u64_e32 vcc, v[0:1], v[2:3]
	v_mov_b32_e32 v3, v1
	s_or_b64 s[0:1], vcc, s[0:1]
	v_mov_b32_e32 v2, v0
	s_andn2_b64 exec, exec, s[0:1]
	s_cbranch_execnz .LBB13_5
.LBB13_6:
	s_endpgm
	.section	.rodata,"a",@progbits
	.p2align	6, 0x0
	.amdhsa_kernel _ZN9rocsparseL17coomvt_aos_kernelILj1024ElddddEEv20rocsparse_operation_lNS_24const_host_device_scalarIT4_EEPKT0_PKT1_PKT2_PT3_21rocsparse_index_base_b
		.amdhsa_group_segment_fixed_size 0
		.amdhsa_private_segment_fixed_size 0
		.amdhsa_kernarg_size 320
		.amdhsa_user_sgpr_count 6
		.amdhsa_user_sgpr_private_segment_buffer 1
		.amdhsa_user_sgpr_dispatch_ptr 0
		.amdhsa_user_sgpr_queue_ptr 0
		.amdhsa_user_sgpr_kernarg_segment_ptr 1
		.amdhsa_user_sgpr_dispatch_id 0
		.amdhsa_user_sgpr_flat_scratch_init 0
		.amdhsa_user_sgpr_private_segment_size 0
		.amdhsa_uses_dynamic_stack 0
		.amdhsa_system_sgpr_private_segment_wavefront_offset 0
		.amdhsa_system_sgpr_workgroup_id_x 1
		.amdhsa_system_sgpr_workgroup_id_y 0
		.amdhsa_system_sgpr_workgroup_id_z 0
		.amdhsa_system_sgpr_workgroup_info 0
		.amdhsa_system_vgpr_workitem_id 0
		.amdhsa_next_free_vgpr 12
		.amdhsa_next_free_sgpr 18
		.amdhsa_reserve_vcc 1
		.amdhsa_reserve_flat_scratch 0
		.amdhsa_float_round_mode_32 0
		.amdhsa_float_round_mode_16_64 0
		.amdhsa_float_denorm_mode_32 3
		.amdhsa_float_denorm_mode_16_64 3
		.amdhsa_dx10_clamp 1
		.amdhsa_ieee_mode 1
		.amdhsa_fp16_overflow 0
		.amdhsa_exception_fp_ieee_invalid_op 0
		.amdhsa_exception_fp_denorm_src 0
		.amdhsa_exception_fp_ieee_div_zero 0
		.amdhsa_exception_fp_ieee_overflow 0
		.amdhsa_exception_fp_ieee_underflow 0
		.amdhsa_exception_fp_ieee_inexact 0
		.amdhsa_exception_int_div_zero 0
	.end_amdhsa_kernel
	.section	.text._ZN9rocsparseL17coomvt_aos_kernelILj1024ElddddEEv20rocsparse_operation_lNS_24const_host_device_scalarIT4_EEPKT0_PKT1_PKT2_PT3_21rocsparse_index_base_b,"axG",@progbits,_ZN9rocsparseL17coomvt_aos_kernelILj1024ElddddEEv20rocsparse_operation_lNS_24const_host_device_scalarIT4_EEPKT0_PKT1_PKT2_PT3_21rocsparse_index_base_b,comdat
.Lfunc_end13:
	.size	_ZN9rocsparseL17coomvt_aos_kernelILj1024ElddddEEv20rocsparse_operation_lNS_24const_host_device_scalarIT4_EEPKT0_PKT1_PKT2_PT3_21rocsparse_index_base_b, .Lfunc_end13-_ZN9rocsparseL17coomvt_aos_kernelILj1024ElddddEEv20rocsparse_operation_lNS_24const_host_device_scalarIT4_EEPKT0_PKT1_PKT2_PT3_21rocsparse_index_base_b
                                        ; -- End function
	.set _ZN9rocsparseL17coomvt_aos_kernelILj1024ElddddEEv20rocsparse_operation_lNS_24const_host_device_scalarIT4_EEPKT0_PKT1_PKT2_PT3_21rocsparse_index_base_b.num_vgpr, 12
	.set _ZN9rocsparseL17coomvt_aos_kernelILj1024ElddddEEv20rocsparse_operation_lNS_24const_host_device_scalarIT4_EEPKT0_PKT1_PKT2_PT3_21rocsparse_index_base_b.num_agpr, 0
	.set _ZN9rocsparseL17coomvt_aos_kernelILj1024ElddddEEv20rocsparse_operation_lNS_24const_host_device_scalarIT4_EEPKT0_PKT1_PKT2_PT3_21rocsparse_index_base_b.numbered_sgpr, 18
	.set _ZN9rocsparseL17coomvt_aos_kernelILj1024ElddddEEv20rocsparse_operation_lNS_24const_host_device_scalarIT4_EEPKT0_PKT1_PKT2_PT3_21rocsparse_index_base_b.num_named_barrier, 0
	.set _ZN9rocsparseL17coomvt_aos_kernelILj1024ElddddEEv20rocsparse_operation_lNS_24const_host_device_scalarIT4_EEPKT0_PKT1_PKT2_PT3_21rocsparse_index_base_b.private_seg_size, 0
	.set _ZN9rocsparseL17coomvt_aos_kernelILj1024ElddddEEv20rocsparse_operation_lNS_24const_host_device_scalarIT4_EEPKT0_PKT1_PKT2_PT3_21rocsparse_index_base_b.uses_vcc, 1
	.set _ZN9rocsparseL17coomvt_aos_kernelILj1024ElddddEEv20rocsparse_operation_lNS_24const_host_device_scalarIT4_EEPKT0_PKT1_PKT2_PT3_21rocsparse_index_base_b.uses_flat_scratch, 0
	.set _ZN9rocsparseL17coomvt_aos_kernelILj1024ElddddEEv20rocsparse_operation_lNS_24const_host_device_scalarIT4_EEPKT0_PKT1_PKT2_PT3_21rocsparse_index_base_b.has_dyn_sized_stack, 0
	.set _ZN9rocsparseL17coomvt_aos_kernelILj1024ElddddEEv20rocsparse_operation_lNS_24const_host_device_scalarIT4_EEPKT0_PKT1_PKT2_PT3_21rocsparse_index_base_b.has_recursion, 0
	.set _ZN9rocsparseL17coomvt_aos_kernelILj1024ElddddEEv20rocsparse_operation_lNS_24const_host_device_scalarIT4_EEPKT0_PKT1_PKT2_PT3_21rocsparse_index_base_b.has_indirect_call, 0
	.section	.AMDGPU.csdata,"",@progbits
; Kernel info:
; codeLenInByte = 344
; TotalNumSgprs: 22
; NumVgprs: 12
; ScratchSize: 0
; MemoryBound: 0
; FloatMode: 240
; IeeeMode: 1
; LDSByteSize: 0 bytes/workgroup (compile time only)
; SGPRBlocks: 2
; VGPRBlocks: 2
; NumSGPRsForWavesPerEU: 22
; NumVGPRsForWavesPerEU: 12
; Occupancy: 10
; WaveLimiterHint : 1
; COMPUTE_PGM_RSRC2:SCRATCH_EN: 0
; COMPUTE_PGM_RSRC2:USER_SGPR: 6
; COMPUTE_PGM_RSRC2:TRAP_HANDLER: 0
; COMPUTE_PGM_RSRC2:TGID_X_EN: 1
; COMPUTE_PGM_RSRC2:TGID_Y_EN: 0
; COMPUTE_PGM_RSRC2:TGID_Z_EN: 0
; COMPUTE_PGM_RSRC2:TIDIG_COMP_CNT: 0
	.section	.text._ZN9rocsparseL26coomvn_aos_segmented_loopsILj256ElddddEEvlT0_NS_24const_host_device_scalarIT4_EEPKS1_PKT1_PKT2_PT3_PS1_PS3_21rocsparse_index_base_b,"axG",@progbits,_ZN9rocsparseL26coomvn_aos_segmented_loopsILj256ElddddEEvlT0_NS_24const_host_device_scalarIT4_EEPKS1_PKT1_PKT2_PT3_PS1_PS3_21rocsparse_index_base_b,comdat
	.globl	_ZN9rocsparseL26coomvn_aos_segmented_loopsILj256ElddddEEvlT0_NS_24const_host_device_scalarIT4_EEPKS1_PKT1_PKT2_PT3_PS1_PS3_21rocsparse_index_base_b ; -- Begin function _ZN9rocsparseL26coomvn_aos_segmented_loopsILj256ElddddEEvlT0_NS_24const_host_device_scalarIT4_EEPKS1_PKT1_PKT2_PT3_PS1_PS3_21rocsparse_index_base_b
	.p2align	8
	.type	_ZN9rocsparseL26coomvn_aos_segmented_loopsILj256ElddddEEvlT0_NS_24const_host_device_scalarIT4_EEPKS1_PKT1_PKT2_PT3_PS1_PS3_21rocsparse_index_base_b,@function
_ZN9rocsparseL26coomvn_aos_segmented_loopsILj256ElddddEEvlT0_NS_24const_host_device_scalarIT4_EEPKS1_PKT1_PKT2_PT3_PS1_PS3_21rocsparse_index_base_b: ; @_ZN9rocsparseL26coomvn_aos_segmented_loopsILj256ElddddEEvlT0_NS_24const_host_device_scalarIT4_EEPKS1_PKT1_PKT2_PT3_PS1_PS3_21rocsparse_index_base_b
; %bb.0:
	s_load_dwordx2 s[34:35], s[4:5], 0x48
	s_load_dwordx2 s[0:1], s[4:5], 0x10
	s_waitcnt lgkmcnt(0)
	s_bitcmp1_b32 s35, 0
	s_cselect_b64 s[2:3], -1, 0
	v_mov_b32_e32 v2, s1
	s_and_b64 vcc, exec, s[2:3]
	v_mov_b32_e32 v1, s0
	s_cbranch_vccnz .LBB14_2
; %bb.1:
	v_mov_b32_e32 v2, s1
	v_mov_b32_e32 v1, s0
	flat_load_dwordx2 v[1:2], v[1:2]
.LBB14_2:
	s_waitcnt vmcnt(0) lgkmcnt(0)
	v_cmp_neq_f64_e32 vcc, 0, v[1:2]
	s_and_saveexec_b64 s[0:1], vcc
	s_cbranch_execz .LBB14_89
; %bb.3:
	s_load_dwordx4 s[28:31], s[4:5], 0x0
	s_load_dwordx4 s[36:39], s[4:5], 0x18
	s_load_dwordx2 s[44:45], s[4:5], 0x28
	v_mov_b32_e32 v5, 0
	v_mov_b32_e32 v3, -1
	s_waitcnt lgkmcnt(0)
	s_mul_i32 s1, s6, s31
	s_mul_hi_u32 s2, s6, s30
	s_mul_i32 s0, s6, s30
	s_add_i32 s1, s2, s1
	s_lshl_b64 s[0:1], s[0:1], 8
	v_or_b32_e32 v7, s0, v0
	v_mov_b32_e32 v8, s1
	v_cmp_gt_i64_e32 vcc, s[28:29], v[7:8]
	v_mov_b32_e32 v6, 0
	v_mov_b32_e32 v4, -1
	s_mov_b32 s7, 0
	s_and_saveexec_b64 s[0:1], vcc
	s_cbranch_execz .LBB14_5
; %bb.4:
	v_lshlrev_b64 v[3:4], 4, v[7:8]
	v_mov_b32_e32 v5, s37
	v_add_co_u32_e32 v3, vcc, s36, v3
	v_addc_co_u32_e32 v4, vcc, v5, v4, vcc
	global_load_dwordx4 v[3:6], v[3:4], off glc slc
	v_lshlrev_b64 v[9:10], 3, v[7:8]
	v_mov_b32_e32 v11, s39
	v_add_co_u32_e32 v9, vcc, s38, v9
	v_addc_co_u32_e32 v10, vcc, v11, v10, vcc
	v_mov_b32_e32 v12, s45
	s_ashr_i32 s35, s34, 31
	s_lshl_b64 s[2:3], s[34:35], 3
	v_mov_b32_e32 v11, s3
	global_load_dwordx2 v[9:10], v[9:10], off glc slc
	s_waitcnt vmcnt(1)
	v_lshlrev_b64 v[5:6], 3, v[5:6]
	v_add_co_u32_e32 v5, vcc, s44, v5
	v_addc_co_u32_e32 v6, vcc, v12, v6, vcc
	v_subrev_co_u32_e32 v5, vcc, s2, v5
	v_subb_co_u32_e32 v6, vcc, v6, v11, vcc
	global_load_dwordx2 v[5:6], v[5:6], off
	v_subrev_co_u32_e32 v3, vcc, s34, v3
	v_subbrev_co_u32_e32 v4, vcc, 0, v4, vcc
	s_waitcnt vmcnt(0)
	v_mul_f64 v[5:6], v[9:10], v[5:6]
.LBB14_5:
	s_or_b64 exec, exec, s[0:1]
	v_lshlrev_b32_e32 v15, 3, v0
	v_or_b32_e32 v16, 0x800, v15
	v_cmp_eq_u32_e64 s[0:1], 0, v0
	v_cmp_ne_u32_e64 s[2:3], 0, v0
	v_add_u32_e32 v17, -8, v15
	ds_write2st64_b64 v15, v[3:4], v[5:6] offset1:4
	s_waitcnt lgkmcnt(0)
	s_barrier
	s_and_saveexec_b64 s[8:9], s[2:3]
	s_cbranch_execz .LBB14_9
; %bb.6:
	ds_read_b64 v[9:10], v17
	s_waitcnt lgkmcnt(0)
	v_cmp_eq_u64_e32 vcc, v[3:4], v[9:10]
	s_and_saveexec_b64 s[10:11], vcc
	s_cbranch_execz .LBB14_8
; %bb.7:
	v_add_u32_e32 v9, -8, v16
	ds_read_b64 v[9:10], v9
	s_waitcnt lgkmcnt(0)
	v_add_f64 v[5:6], v[5:6], v[9:10]
.LBB14_8:
	s_or_b64 exec, exec, s[10:11]
.LBB14_9:
	s_or_b64 exec, exec, s[8:9]
	v_cmp_lt_u32_e64 s[22:23], 1, v0
	v_add_u32_e32 v18, -16, v15
	s_barrier
	ds_write_b64 v16, v[5:6]
	s_waitcnt lgkmcnt(0)
	s_barrier
	s_and_saveexec_b64 s[8:9], s[22:23]
	s_cbranch_execz .LBB14_13
; %bb.10:
	ds_read_b64 v[9:10], v18
	s_waitcnt lgkmcnt(0)
	v_cmp_eq_u64_e32 vcc, v[3:4], v[9:10]
	s_and_saveexec_b64 s[10:11], vcc
	s_cbranch_execz .LBB14_12
; %bb.11:
	v_add_u32_e32 v9, -16, v16
	ds_read_b64 v[9:10], v9
	s_waitcnt lgkmcnt(0)
	v_add_f64 v[5:6], v[5:6], v[9:10]
.LBB14_12:
	s_or_b64 exec, exec, s[10:11]
.LBB14_13:
	s_or_b64 exec, exec, s[8:9]
	v_cmp_lt_u32_e64 s[8:9], 3, v0
	v_subrev_u32_e32 v19, 32, v15
	s_barrier
	ds_write_b64 v16, v[5:6]
	s_waitcnt lgkmcnt(0)
	s_barrier
	s_and_saveexec_b64 s[10:11], s[8:9]
	s_cbranch_execz .LBB14_17
; %bb.14:
	ds_read_b64 v[9:10], v19
	s_waitcnt lgkmcnt(0)
	v_cmp_eq_u64_e32 vcc, v[3:4], v[9:10]
	s_and_saveexec_b64 s[12:13], vcc
	s_cbranch_execz .LBB14_16
; %bb.15:
	v_subrev_u32_e32 v9, 32, v16
	ds_read_b64 v[9:10], v9
	s_waitcnt lgkmcnt(0)
	v_add_f64 v[5:6], v[5:6], v[9:10]
.LBB14_16:
	s_or_b64 exec, exec, s[12:13]
.LBB14_17:
	s_or_b64 exec, exec, s[10:11]
	v_cmp_lt_u32_e64 s[10:11], 7, v0
	v_subrev_u32_e32 v20, 64, v15
	s_barrier
	ds_write_b64 v16, v[5:6]
	s_waitcnt lgkmcnt(0)
	s_barrier
	s_and_saveexec_b64 s[12:13], s[10:11]
	s_cbranch_execz .LBB14_21
; %bb.18:
	ds_read_b64 v[9:10], v20
	s_waitcnt lgkmcnt(0)
	v_cmp_eq_u64_e32 vcc, v[3:4], v[9:10]
	s_and_saveexec_b64 s[14:15], vcc
	s_cbranch_execz .LBB14_20
; %bb.19:
	v_subrev_u32_e32 v9, 64, v16
	ds_read_b64 v[9:10], v9
	s_waitcnt lgkmcnt(0)
	v_add_f64 v[5:6], v[5:6], v[9:10]
.LBB14_20:
	s_or_b64 exec, exec, s[14:15]
.LBB14_21:
	s_or_b64 exec, exec, s[12:13]
	v_cmp_lt_u32_e64 s[12:13], 15, v0
	s_barrier
	ds_write_b64 v16, v[5:6]
	s_waitcnt lgkmcnt(0)
	s_barrier
	s_and_saveexec_b64 s[14:15], s[12:13]
	s_cbranch_execz .LBB14_25
; %bb.22:
	v_add_u32_e32 v9, 0xffffff80, v15
	ds_read_b64 v[9:10], v9
	s_waitcnt lgkmcnt(0)
	v_cmp_eq_u64_e32 vcc, v[3:4], v[9:10]
	s_and_saveexec_b64 s[16:17], vcc
	s_cbranch_execz .LBB14_24
; %bb.23:
	v_add_u32_e32 v9, 0xffffff80, v16
	ds_read_b64 v[9:10], v9
	s_waitcnt lgkmcnt(0)
	v_add_f64 v[5:6], v[5:6], v[9:10]
.LBB14_24:
	s_or_b64 exec, exec, s[16:17]
.LBB14_25:
	s_or_b64 exec, exec, s[14:15]
	v_cmp_lt_u32_e64 s[14:15], 31, v0
	s_barrier
	ds_write_b64 v16, v[5:6]
	s_waitcnt lgkmcnt(0)
	s_barrier
	s_and_saveexec_b64 s[16:17], s[14:15]
	s_cbranch_execz .LBB14_29
; %bb.26:
	v_add_u32_e32 v9, 0xffffff00, v15
	ds_read_b64 v[9:10], v9
	s_waitcnt lgkmcnt(0)
	v_cmp_eq_u64_e32 vcc, v[3:4], v[9:10]
	s_and_saveexec_b64 s[18:19], vcc
	s_cbranch_execz .LBB14_28
; %bb.27:
	v_add_u32_e32 v9, 0xffffff00, v16
	ds_read_b64 v[9:10], v9
	s_waitcnt lgkmcnt(0)
	v_add_f64 v[5:6], v[5:6], v[9:10]
.LBB14_28:
	s_or_b64 exec, exec, s[18:19]
.LBB14_29:
	;; [unrolled: 23-line block ×3, first 2 shown]
	s_or_b64 exec, exec, s[18:19]
	s_load_dwordx2 s[40:41], s[4:5], 0x30
	s_movk_i32 s18, 0x7f
	v_cmp_lt_u32_e64 s[18:19], s18, v0
	s_waitcnt lgkmcnt(0)
	s_barrier
	ds_write_b64 v16, v[5:6]
	s_waitcnt lgkmcnt(0)
	s_barrier
	s_and_saveexec_b64 s[20:21], s[18:19]
	s_cbranch_execz .LBB14_37
; %bb.34:
	v_add_u32_e32 v9, 0xfffffc00, v15
	ds_read_b64 v[9:10], v9
	s_waitcnt lgkmcnt(0)
	v_cmp_eq_u64_e32 vcc, v[3:4], v[9:10]
	s_and_saveexec_b64 s[24:25], vcc
	s_cbranch_execz .LBB14_36
; %bb.35:
	v_add_u32_e32 v9, 0xfffffc00, v16
	ds_read_b64 v[9:10], v9
	s_waitcnt lgkmcnt(0)
	v_add_f64 v[5:6], v[5:6], v[9:10]
.LBB14_36:
	s_or_b64 exec, exec, s[24:25]
.LBB14_37:
	s_or_b64 exec, exec, s[20:21]
	s_movk_i32 s20, 0xff
	v_cmp_gt_u32_e64 s[20:21], s20, v0
	s_barrier
	ds_write_b64 v16, v[5:6]
	s_waitcnt lgkmcnt(0)
	s_barrier
	s_and_saveexec_b64 s[26:27], s[20:21]
	s_cbranch_execz .LBB14_40
; %bb.38:
	ds_read_b64 v[9:10], v15 offset:8
	v_cmp_lt_i64_e64 s[24:25], -1, v[3:4]
	s_waitcnt lgkmcnt(0)
	v_cmp_ne_u64_e32 vcc, v[3:4], v[9:10]
	s_and_b64 s[24:25], s[24:25], vcc
	s_and_b64 exec, exec, s[24:25]
	s_cbranch_execz .LBB14_40
; %bb.39:
	v_lshlrev_b64 v[9:10], 3, v[3:4]
	v_mov_b32_e32 v11, s41
	v_add_co_u32_e32 v9, vcc, s40, v9
	v_addc_co_u32_e32 v10, vcc, v11, v10, vcc
	global_load_dwordx2 v[11:12], v[9:10], off
	s_waitcnt vmcnt(0)
	v_fma_f64 v[11:12], v[1:2], v[5:6], v[11:12]
	global_store_dwordx2 v[9:10], v[11:12], off
.LBB14_40:
	s_or_b64 exec, exec, s[26:27]
	s_load_dwordx4 s[24:27], s[4:5], 0x38
	v_cmp_lt_i64_e64 s[4:5], s[30:31], 2
	s_and_b64 vcc, exec, s[4:5]
	s_cbranch_vccnz .LBB14_87
; %bb.41:
	s_add_u32 s42, s30, -1
	s_addc_u32 s43, s31, -1
	s_ashr_i32 s35, s34, 31
	s_lshl_b64 s[4:5], s[34:35], 3
	s_sub_u32 s33, s44, s4
	s_subb_u32 s35, s45, s5
	s_mul_i32 s4, s31, s6
	s_mul_hi_u32 s5, s30, s6
	s_add_i32 s5, s5, s4
	s_mul_i32 s4, s30, s6
	s_lshl_b64 s[30:31], s[4:5], 11
	s_add_u32 s30, s38, s30
	s_addc_u32 s31, s39, s31
	s_lshl_b64 s[4:5], s[4:5], 12
	s_add_u32 s4, s36, s4
	v_lshlrev_b32_e32 v4, 4, v0
	s_addc_u32 s5, s37, s5
	v_mov_b32_e32 v5, s5
	v_add_co_u32_e32 v4, vcc, s4, v4
	v_addc_co_u32_e32 v5, vcc, 0, v5, vcc
	s_movk_i32 s4, 0x1008
	v_mov_b32_e32 v3, s31
	v_add_co_u32_e32 v9, vcc, s4, v4
	s_movk_i32 s31, 0x100
	s_mov_b64 s[4:5], vcc
	v_add_co_u32_e32 v7, vcc, s31, v7
	v_addc_co_u32_e32 v8, vcc, 0, v8, vcc
	v_add_co_u32_e32 v4, vcc, s30, v15
	v_addc_co_u32_e32 v3, vcc, 0, v3, vcc
	s_movk_i32 s30, 0x800
	v_add_co_u32_e32 v11, vcc, s30, v4
	v_add_u32_e32 v21, 0xffffff80, v15
	v_add_u32_e32 v22, 0xffffff80, v16
	;; [unrolled: 1-line block ×5, first 2 shown]
	v_addc_co_u32_e32 v12, vcc, 0, v3, vcc
	v_add_u32_e32 v26, 0xfffffe00, v16
	v_addc_co_u32_e64 v10, vcc, 0, v5, s[4:5]
	v_add_u32_e32 v27, 0xfffffc00, v15
	s_mov_b64 s[30:31], 0
	v_add_u32_e32 v28, 0xfffffc00, v16
	v_mov_b32_e32 v29, 0
	s_branch .LBB14_43
.LBB14_42:                              ;   in Loop: Header=BB14_43 Depth=1
	s_or_b64 exec, exec, s[36:37]
	v_add_co_u32_e32 v11, vcc, 0x800, v11
	v_addc_co_u32_e32 v12, vcc, 0, v12, vcc
	s_add_u32 s30, s30, 1
	v_add_co_u32_e32 v9, vcc, 0x1000, v9
	s_addc_u32 s31, s31, 0
	v_mov_b32_e32 v13, s30
	v_addc_co_u32_e32 v10, vcc, 0, v10, vcc
	v_mov_b32_e32 v14, s31
	v_add_co_u32_e32 v7, vcc, 0x100, v7
	v_cmp_le_u64_e64 s[4:5], s[42:43], v[13:14]
	v_addc_co_u32_e32 v8, vcc, 0, v8, vcc
	s_and_b64 vcc, exec, s[4:5]
	s_cbranch_vccnz .LBB14_87
.LBB14_43:                              ; =>This Inner Loop Header: Depth=1
	v_cmp_gt_i64_e32 vcc, s[28:29], v[7:8]
	v_mov_b32_e32 v5, 0
	v_mov_b32_e32 v3, -1
	v_mov_b32_e32 v6, 0
	v_mov_b32_e32 v4, -1
	s_and_saveexec_b64 s[4:5], vcc
	s_cbranch_execz .LBB14_45
; %bb.44:                               ;   in Loop: Header=BB14_43 Depth=1
	global_load_dwordx4 v[3:6], v[9:10], off offset:-8 glc slc
	global_load_dwordx2 v[13:14], v[11:12], off glc slc
	v_mov_b32_e32 v30, s35
	s_waitcnt vmcnt(1)
	v_lshlrev_b64 v[5:6], 3, v[5:6]
	v_add_co_u32_e32 v5, vcc, s33, v5
	v_addc_co_u32_e32 v6, vcc, v30, v6, vcc
	global_load_dwordx2 v[5:6], v[5:6], off
	v_subrev_co_u32_e32 v3, vcc, s34, v3
	v_subbrev_co_u32_e32 v4, vcc, 0, v4, vcc
	s_waitcnt vmcnt(0)
	v_mul_f64 v[5:6], v[13:14], v[5:6]
.LBB14_45:                              ;   in Loop: Header=BB14_43 Depth=1
	s_or_b64 exec, exec, s[4:5]
	s_and_saveexec_b64 s[4:5], s[0:1]
	s_cbranch_execz .LBB14_52
; %bb.46:                               ;   in Loop: Header=BB14_43 Depth=1
	ds_read_b64 v[13:14], v29 offset:2040
	s_waitcnt lgkmcnt(0)
	v_cmp_ne_u64_e32 vcc, v[3:4], v[13:14]
	s_and_saveexec_b64 s[36:37], vcc
	s_xor_b64 s[36:37], exec, s[36:37]
	s_cbranch_execz .LBB14_49
; %bb.47:                               ;   in Loop: Header=BB14_43 Depth=1
	v_cmp_gt_i64_e32 vcc, 0, v[13:14]
	s_cbranch_vccnz .LBB14_49
; %bb.48:                               ;   in Loop: Header=BB14_43 Depth=1
	v_lshlrev_b64 v[13:14], 3, v[13:14]
	v_mov_b32_e32 v30, s41
	v_add_co_u32_e32 v13, vcc, s40, v13
	v_addc_co_u32_e32 v14, vcc, v30, v14, vcc
	global_load_dwordx2 v[30:31], v[13:14], off
	ds_read_b64 v[32:33], v29 offset:4088
	s_waitcnt vmcnt(0) lgkmcnt(0)
	v_fma_f64 v[30:31], v[1:2], v[32:33], v[30:31]
	global_store_dwordx2 v[13:14], v[30:31], off
.LBB14_49:                              ;   in Loop: Header=BB14_43 Depth=1
	s_andn2_saveexec_b64 s[36:37], s[36:37]
	s_cbranch_execz .LBB14_51
; %bb.50:                               ;   in Loop: Header=BB14_43 Depth=1
	ds_read_b64 v[13:14], v29 offset:4088
	s_waitcnt lgkmcnt(0)
	v_add_f64 v[5:6], v[5:6], v[13:14]
.LBB14_51:                              ;   in Loop: Header=BB14_43 Depth=1
	s_or_b64 exec, exec, s[36:37]
.LBB14_52:                              ;   in Loop: Header=BB14_43 Depth=1
	s_or_b64 exec, exec, s[4:5]
	s_waitcnt vmcnt(0) lgkmcnt(0)
	s_barrier
	ds_write_b64 v15, v[3:4]
	ds_write_b64 v16, v[5:6]
	s_waitcnt lgkmcnt(0)
	s_barrier
	s_and_saveexec_b64 s[4:5], s[2:3]
	s_cbranch_execz .LBB14_56
; %bb.53:                               ;   in Loop: Header=BB14_43 Depth=1
	ds_read_b64 v[13:14], v17
	s_waitcnt lgkmcnt(0)
	v_cmp_eq_u64_e32 vcc, v[3:4], v[13:14]
	s_and_saveexec_b64 s[36:37], vcc
	s_cbranch_execz .LBB14_55
; %bb.54:                               ;   in Loop: Header=BB14_43 Depth=1
	v_add_u32_e32 v13, -8, v16
	ds_read_b64 v[13:14], v13
	s_waitcnt lgkmcnt(0)
	v_add_f64 v[5:6], v[5:6], v[13:14]
.LBB14_55:                              ;   in Loop: Header=BB14_43 Depth=1
	s_or_b64 exec, exec, s[36:37]
.LBB14_56:                              ;   in Loop: Header=BB14_43 Depth=1
	s_or_b64 exec, exec, s[4:5]
	s_barrier
	ds_write_b64 v16, v[5:6]
	s_waitcnt lgkmcnt(0)
	s_barrier
	s_and_saveexec_b64 s[4:5], s[22:23]
	s_cbranch_execz .LBB14_60
; %bb.57:                               ;   in Loop: Header=BB14_43 Depth=1
	ds_read_b64 v[13:14], v18
	s_waitcnt lgkmcnt(0)
	v_cmp_eq_u64_e32 vcc, v[3:4], v[13:14]
	s_and_saveexec_b64 s[36:37], vcc
	s_cbranch_execz .LBB14_59
; %bb.58:                               ;   in Loop: Header=BB14_43 Depth=1
	v_add_u32_e32 v13, -16, v16
	ds_read_b64 v[13:14], v13
	s_waitcnt lgkmcnt(0)
	v_add_f64 v[5:6], v[5:6], v[13:14]
.LBB14_59:                              ;   in Loop: Header=BB14_43 Depth=1
	s_or_b64 exec, exec, s[36:37]
.LBB14_60:                              ;   in Loop: Header=BB14_43 Depth=1
	s_or_b64 exec, exec, s[4:5]
	s_barrier
	ds_write_b64 v16, v[5:6]
	s_waitcnt lgkmcnt(0)
	s_barrier
	s_and_saveexec_b64 s[4:5], s[8:9]
	s_cbranch_execz .LBB14_64
; %bb.61:                               ;   in Loop: Header=BB14_43 Depth=1
	ds_read_b64 v[13:14], v19
	s_waitcnt lgkmcnt(0)
	v_cmp_eq_u64_e32 vcc, v[3:4], v[13:14]
	s_and_saveexec_b64 s[36:37], vcc
	s_cbranch_execz .LBB14_63
; %bb.62:                               ;   in Loop: Header=BB14_43 Depth=1
	v_subrev_u32_e32 v13, 32, v16
	ds_read_b64 v[13:14], v13
	s_waitcnt lgkmcnt(0)
	v_add_f64 v[5:6], v[5:6], v[13:14]
.LBB14_63:                              ;   in Loop: Header=BB14_43 Depth=1
	s_or_b64 exec, exec, s[36:37]
.LBB14_64:                              ;   in Loop: Header=BB14_43 Depth=1
	s_or_b64 exec, exec, s[4:5]
	s_barrier
	ds_write_b64 v16, v[5:6]
	s_waitcnt lgkmcnt(0)
	s_barrier
	s_and_saveexec_b64 s[4:5], s[10:11]
	s_cbranch_execz .LBB14_68
; %bb.65:                               ;   in Loop: Header=BB14_43 Depth=1
	ds_read_b64 v[13:14], v20
	s_waitcnt lgkmcnt(0)
	v_cmp_eq_u64_e32 vcc, v[3:4], v[13:14]
	s_and_saveexec_b64 s[36:37], vcc
	s_cbranch_execz .LBB14_67
; %bb.66:                               ;   in Loop: Header=BB14_43 Depth=1
	v_subrev_u32_e32 v13, 64, v16
	ds_read_b64 v[13:14], v13
	s_waitcnt lgkmcnt(0)
	v_add_f64 v[5:6], v[5:6], v[13:14]
.LBB14_67:                              ;   in Loop: Header=BB14_43 Depth=1
	s_or_b64 exec, exec, s[36:37]
.LBB14_68:                              ;   in Loop: Header=BB14_43 Depth=1
	s_or_b64 exec, exec, s[4:5]
	s_barrier
	ds_write_b64 v16, v[5:6]
	s_waitcnt lgkmcnt(0)
	s_barrier
	s_and_saveexec_b64 s[4:5], s[12:13]
	s_cbranch_execz .LBB14_72
; %bb.69:                               ;   in Loop: Header=BB14_43 Depth=1
	ds_read_b64 v[13:14], v21
	s_waitcnt lgkmcnt(0)
	v_cmp_eq_u64_e32 vcc, v[3:4], v[13:14]
	s_and_saveexec_b64 s[36:37], vcc
	s_cbranch_execz .LBB14_71
; %bb.70:                               ;   in Loop: Header=BB14_43 Depth=1
	ds_read_b64 v[13:14], v22
	s_waitcnt lgkmcnt(0)
	v_add_f64 v[5:6], v[5:6], v[13:14]
.LBB14_71:                              ;   in Loop: Header=BB14_43 Depth=1
	s_or_b64 exec, exec, s[36:37]
.LBB14_72:                              ;   in Loop: Header=BB14_43 Depth=1
	s_or_b64 exec, exec, s[4:5]
	s_barrier
	ds_write_b64 v16, v[5:6]
	s_waitcnt lgkmcnt(0)
	s_barrier
	s_and_saveexec_b64 s[4:5], s[14:15]
	s_cbranch_execz .LBB14_76
; %bb.73:                               ;   in Loop: Header=BB14_43 Depth=1
	ds_read_b64 v[13:14], v23
	s_waitcnt lgkmcnt(0)
	v_cmp_eq_u64_e32 vcc, v[3:4], v[13:14]
	s_and_saveexec_b64 s[36:37], vcc
	s_cbranch_execz .LBB14_75
; %bb.74:                               ;   in Loop: Header=BB14_43 Depth=1
	ds_read_b64 v[13:14], v24
	s_waitcnt lgkmcnt(0)
	v_add_f64 v[5:6], v[5:6], v[13:14]
.LBB14_75:                              ;   in Loop: Header=BB14_43 Depth=1
	s_or_b64 exec, exec, s[36:37]
.LBB14_76:                              ;   in Loop: Header=BB14_43 Depth=1
	;; [unrolled: 20-line block ×4, first 2 shown]
	s_or_b64 exec, exec, s[4:5]
	s_barrier
	ds_write_b64 v16, v[5:6]
	s_waitcnt lgkmcnt(0)
	s_barrier
	s_and_saveexec_b64 s[36:37], s[20:21]
	s_cbranch_execz .LBB14_42
; %bb.85:                               ;   in Loop: Header=BB14_43 Depth=1
	ds_read_b64 v[13:14], v15 offset:8
	v_cmp_lt_i64_e64 s[4:5], -1, v[3:4]
	s_waitcnt lgkmcnt(0)
	v_cmp_ne_u64_e32 vcc, v[3:4], v[13:14]
	s_and_b64 s[4:5], s[4:5], vcc
	s_and_b64 exec, exec, s[4:5]
	s_cbranch_execz .LBB14_42
; %bb.86:                               ;   in Loop: Header=BB14_43 Depth=1
	v_lshlrev_b64 v[13:14], 3, v[3:4]
	v_mov_b32_e32 v30, s41
	v_add_co_u32_e32 v13, vcc, s40, v13
	v_addc_co_u32_e32 v14, vcc, v30, v14, vcc
	global_load_dwordx2 v[30:31], v[13:14], off
	s_waitcnt vmcnt(0)
	v_fma_f64 v[30:31], v[1:2], v[5:6], v[30:31]
	global_store_dwordx2 v[13:14], v[30:31], off
	s_branch .LBB14_42
.LBB14_87:
	s_movk_i32 s0, 0xff
	v_cmp_eq_u32_e32 vcc, s0, v0
	s_and_b64 exec, exec, vcc
	s_cbranch_execz .LBB14_89
; %bb.88:
	v_mul_f64 v[0:1], v[1:2], v[5:6]
	s_lshl_b64 s[0:1], s[6:7], 3
	s_waitcnt lgkmcnt(0)
	s_add_u32 s2, s24, s0
	s_addc_u32 s3, s25, s1
	v_mov_b32_e32 v2, 0
	s_add_u32 s0, s26, s0
	s_addc_u32 s1, s27, s1
	global_store_dwordx2 v2, v[3:4], s[2:3] glc slc
	global_store_dwordx2 v2, v[0:1], s[0:1] glc slc
.LBB14_89:
	s_endpgm
	.section	.rodata,"a",@progbits
	.p2align	6, 0x0
	.amdhsa_kernel _ZN9rocsparseL26coomvn_aos_segmented_loopsILj256ElddddEEvlT0_NS_24const_host_device_scalarIT4_EEPKS1_PKT1_PKT2_PT3_PS1_PS3_21rocsparse_index_base_b
		.amdhsa_group_segment_fixed_size 4096
		.amdhsa_private_segment_fixed_size 0
		.amdhsa_kernarg_size 80
		.amdhsa_user_sgpr_count 6
		.amdhsa_user_sgpr_private_segment_buffer 1
		.amdhsa_user_sgpr_dispatch_ptr 0
		.amdhsa_user_sgpr_queue_ptr 0
		.amdhsa_user_sgpr_kernarg_segment_ptr 1
		.amdhsa_user_sgpr_dispatch_id 0
		.amdhsa_user_sgpr_flat_scratch_init 0
		.amdhsa_user_sgpr_private_segment_size 0
		.amdhsa_uses_dynamic_stack 0
		.amdhsa_system_sgpr_private_segment_wavefront_offset 0
		.amdhsa_system_sgpr_workgroup_id_x 1
		.amdhsa_system_sgpr_workgroup_id_y 0
		.amdhsa_system_sgpr_workgroup_id_z 0
		.amdhsa_system_sgpr_workgroup_info 0
		.amdhsa_system_vgpr_workitem_id 0
		.amdhsa_next_free_vgpr 34
		.amdhsa_next_free_sgpr 46
		.amdhsa_reserve_vcc 1
		.amdhsa_reserve_flat_scratch 0
		.amdhsa_float_round_mode_32 0
		.amdhsa_float_round_mode_16_64 0
		.amdhsa_float_denorm_mode_32 3
		.amdhsa_float_denorm_mode_16_64 3
		.amdhsa_dx10_clamp 1
		.amdhsa_ieee_mode 1
		.amdhsa_fp16_overflow 0
		.amdhsa_exception_fp_ieee_invalid_op 0
		.amdhsa_exception_fp_denorm_src 0
		.amdhsa_exception_fp_ieee_div_zero 0
		.amdhsa_exception_fp_ieee_overflow 0
		.amdhsa_exception_fp_ieee_underflow 0
		.amdhsa_exception_fp_ieee_inexact 0
		.amdhsa_exception_int_div_zero 0
	.end_amdhsa_kernel
	.section	.text._ZN9rocsparseL26coomvn_aos_segmented_loopsILj256ElddddEEvlT0_NS_24const_host_device_scalarIT4_EEPKS1_PKT1_PKT2_PT3_PS1_PS3_21rocsparse_index_base_b,"axG",@progbits,_ZN9rocsparseL26coomvn_aos_segmented_loopsILj256ElddddEEvlT0_NS_24const_host_device_scalarIT4_EEPKS1_PKT1_PKT2_PT3_PS1_PS3_21rocsparse_index_base_b,comdat
.Lfunc_end14:
	.size	_ZN9rocsparseL26coomvn_aos_segmented_loopsILj256ElddddEEvlT0_NS_24const_host_device_scalarIT4_EEPKS1_PKT1_PKT2_PT3_PS1_PS3_21rocsparse_index_base_b, .Lfunc_end14-_ZN9rocsparseL26coomvn_aos_segmented_loopsILj256ElddddEEvlT0_NS_24const_host_device_scalarIT4_EEPKS1_PKT1_PKT2_PT3_PS1_PS3_21rocsparse_index_base_b
                                        ; -- End function
	.set _ZN9rocsparseL26coomvn_aos_segmented_loopsILj256ElddddEEvlT0_NS_24const_host_device_scalarIT4_EEPKS1_PKT1_PKT2_PT3_PS1_PS3_21rocsparse_index_base_b.num_vgpr, 34
	.set _ZN9rocsparseL26coomvn_aos_segmented_loopsILj256ElddddEEvlT0_NS_24const_host_device_scalarIT4_EEPKS1_PKT1_PKT2_PT3_PS1_PS3_21rocsparse_index_base_b.num_agpr, 0
	.set _ZN9rocsparseL26coomvn_aos_segmented_loopsILj256ElddddEEvlT0_NS_24const_host_device_scalarIT4_EEPKS1_PKT1_PKT2_PT3_PS1_PS3_21rocsparse_index_base_b.numbered_sgpr, 46
	.set _ZN9rocsparseL26coomvn_aos_segmented_loopsILj256ElddddEEvlT0_NS_24const_host_device_scalarIT4_EEPKS1_PKT1_PKT2_PT3_PS1_PS3_21rocsparse_index_base_b.num_named_barrier, 0
	.set _ZN9rocsparseL26coomvn_aos_segmented_loopsILj256ElddddEEvlT0_NS_24const_host_device_scalarIT4_EEPKS1_PKT1_PKT2_PT3_PS1_PS3_21rocsparse_index_base_b.private_seg_size, 0
	.set _ZN9rocsparseL26coomvn_aos_segmented_loopsILj256ElddddEEvlT0_NS_24const_host_device_scalarIT4_EEPKS1_PKT1_PKT2_PT3_PS1_PS3_21rocsparse_index_base_b.uses_vcc, 1
	.set _ZN9rocsparseL26coomvn_aos_segmented_loopsILj256ElddddEEvlT0_NS_24const_host_device_scalarIT4_EEPKS1_PKT1_PKT2_PT3_PS1_PS3_21rocsparse_index_base_b.uses_flat_scratch, 0
	.set _ZN9rocsparseL26coomvn_aos_segmented_loopsILj256ElddddEEvlT0_NS_24const_host_device_scalarIT4_EEPKS1_PKT1_PKT2_PT3_PS1_PS3_21rocsparse_index_base_b.has_dyn_sized_stack, 0
	.set _ZN9rocsparseL26coomvn_aos_segmented_loopsILj256ElddddEEvlT0_NS_24const_host_device_scalarIT4_EEPKS1_PKT1_PKT2_PT3_PS1_PS3_21rocsparse_index_base_b.has_recursion, 0
	.set _ZN9rocsparseL26coomvn_aos_segmented_loopsILj256ElddddEEvlT0_NS_24const_host_device_scalarIT4_EEPKS1_PKT1_PKT2_PT3_PS1_PS3_21rocsparse_index_base_b.has_indirect_call, 0
	.section	.AMDGPU.csdata,"",@progbits
; Kernel info:
; codeLenInByte = 2656
; TotalNumSgprs: 50
; NumVgprs: 34
; ScratchSize: 0
; MemoryBound: 1
; FloatMode: 240
; IeeeMode: 1
; LDSByteSize: 4096 bytes/workgroup (compile time only)
; SGPRBlocks: 6
; VGPRBlocks: 8
; NumSGPRsForWavesPerEU: 50
; NumVGPRsForWavesPerEU: 34
; Occupancy: 7
; WaveLimiterHint : 1
; COMPUTE_PGM_RSRC2:SCRATCH_EN: 0
; COMPUTE_PGM_RSRC2:USER_SGPR: 6
; COMPUTE_PGM_RSRC2:TRAP_HANDLER: 0
; COMPUTE_PGM_RSRC2:TGID_X_EN: 1
; COMPUTE_PGM_RSRC2:TGID_Y_EN: 0
; COMPUTE_PGM_RSRC2:TGID_Z_EN: 0
; COMPUTE_PGM_RSRC2:TIDIG_COMP_CNT: 0
	.section	.text._ZN9rocsparseL29coomvn_segmented_loops_reduceILj256ElddEEvT0_NS_24const_host_device_scalarIT2_EEPKS1_PKS3_PT1_b,"axG",@progbits,_ZN9rocsparseL29coomvn_segmented_loops_reduceILj256ElddEEvT0_NS_24const_host_device_scalarIT2_EEPKS1_PKS3_PT1_b,comdat
	.globl	_ZN9rocsparseL29coomvn_segmented_loops_reduceILj256ElddEEvT0_NS_24const_host_device_scalarIT2_EEPKS1_PKS3_PT1_b ; -- Begin function _ZN9rocsparseL29coomvn_segmented_loops_reduceILj256ElddEEvT0_NS_24const_host_device_scalarIT2_EEPKS1_PKS3_PT1_b
	.p2align	8
	.type	_ZN9rocsparseL29coomvn_segmented_loops_reduceILj256ElddEEvT0_NS_24const_host_device_scalarIT2_EEPKS1_PKS3_PT1_b,@function
_ZN9rocsparseL29coomvn_segmented_loops_reduceILj256ElddEEvT0_NS_24const_host_device_scalarIT2_EEPKS1_PKS3_PT1_b: ; @_ZN9rocsparseL29coomvn_segmented_loops_reduceILj256ElddEEvT0_NS_24const_host_device_scalarIT2_EEPKS1_PKS3_PT1_b
; %bb.0:
	s_load_dword s0, s[4:5], 0x28
	s_load_dwordx4 s[8:11], s[4:5], 0x0
	s_waitcnt lgkmcnt(0)
	s_bitcmp1_b32 s0, 0
	s_cselect_b64 s[0:1], -1, 0
	v_mov_b32_e32 v1, s10
	s_and_b64 vcc, exec, s[0:1]
	v_mov_b32_e32 v2, s11
	s_cbranch_vccnz .LBB15_2
; %bb.1:
	v_mov_b32_e32 v1, s10
	v_mov_b32_e32 v2, s11
	flat_load_dwordx2 v[1:2], v[1:2]
.LBB15_2:
	s_waitcnt vmcnt(0) lgkmcnt(0)
	v_cmp_neq_f64_e32 vcc, 0, v[1:2]
	s_and_saveexec_b64 s[0:1], vcc
	s_cbranch_execz .LBB15_44
; %bb.3:
	v_cmp_lt_i64_e64 s[0:1], s[8:9], 1
	s_and_b64 vcc, exec, s[0:1]
	s_cbranch_vccnz .LBB15_44
; %bb.4:
	v_subrev_co_u32_e32 v1, vcc, 1, v0
	v_mov_b32_e32 v2, 0x800
	s_xor_b64 s[10:11], vcc, -1
	v_lshl_add_u32 v13, v1, 3, v2
	v_subrev_co_u32_e32 v1, vcc, 2, v0
	s_xor_b64 s[16:17], vcc, -1
	v_lshl_add_u32 v14, v1, 3, v2
	v_subrev_co_u32_e32 v1, vcc, 4, v0
	;; [unrolled: 3-line block ×3, first 2 shown]
	s_load_dwordx4 s[12:15], s[4:5], 0x10
	s_load_dwordx2 s[6:7], s[4:5], 0x20
	s_xor_b64 s[20:21], vcc, -1
	v_lshl_add_u32 v17, v1, 3, v2
	v_subrev_co_u32_e32 v1, vcc, 16, v0
	s_xor_b64 s[22:23], vcc, -1
	v_lshl_add_u32 v18, v1, 3, v2
	v_subrev_co_u32_e32 v1, vcc, 32, v0
	v_lshl_add_u32 v19, v1, 3, v2
	v_subrev_co_u32_e64 v1, s[0:1], 64, v0
	s_movk_i32 s2, 0x80
	v_lshlrev_b32_e32 v11, 3, v0
	v_lshl_add_u32 v20, v1, 3, v2
	v_subrev_co_u32_e64 v1, s[2:3], s2, v0
	v_lshl_add_u32 v21, v1, 3, v2
	s_waitcnt lgkmcnt(0)
	v_mov_b32_e32 v2, s15
	v_add_co_u32_e64 v1, s[4:5], s14, v11
	v_addc_co_u32_e64 v2, s[4:5], 0, v2, s[4:5]
	v_mov_b32_e32 v4, s13
	v_add_co_u32_e64 v3, s[4:5], s12, v11
	v_addc_co_u32_e64 v4, s[4:5], 0, v4, s[4:5]
	s_xor_b64 s[12:13], s[0:1], -1
	s_movk_i32 s0, 0xff
	v_or_b32_e32 v12, 0x800, v11
	v_subrev_u32_e32 v16, 64, v11
	v_add_u32_e32 v22, 0xffffff80, v11
	s_xor_b64 s[4:5], vcc, -1
	s_xor_b64 s[14:15], s[2:3], -1
	v_cmp_gt_u32_e64 s[0:1], s0, v0
	s_mov_b64 s[24:25], 0
	v_add_u32_e32 v23, 0xffffff00, v11
	v_add_u32_e32 v24, 0xfffffe00, v11
	;; [unrolled: 1-line block ×3, first 2 shown]
	s_branch .LBB15_6
.LBB15_5:                               ;   in Loop: Header=BB15_6 Depth=1
	s_or_b64 exec, exec, s[2:3]
	s_add_u32 s24, s24, 0x100
	v_add_co_u32_e32 v1, vcc, 0x800, v1
	v_mov_b32_e32 v5, s8
	s_addc_u32 s25, s25, 0
	v_addc_co_u32_e32 v2, vcc, 0, v2, vcc
	v_mov_b32_e32 v6, s9
	v_add_co_u32_e32 v3, vcc, 0x800, v3
	v_cmp_lt_i64_e64 s[2:3], s[24:25], v[5:6]
	v_addc_co_u32_e32 v4, vcc, 0, v4, vcc
	s_and_b64 vcc, exec, s[2:3]
	s_waitcnt vmcnt(0)
	s_barrier
	s_cbranch_vccz .LBB15_44
.LBB15_6:                               ; =>This Inner Loop Header: Depth=1
	v_mov_b32_e32 v6, s25
	v_add_co_u32_e32 v5, vcc, s24, v0
	v_addc_co_u32_e32 v6, vcc, 0, v6, vcc
	v_cmp_gt_i64_e32 vcc, s[8:9], v[5:6]
	v_mov_b32_e32 v5, 0
	v_mov_b32_e32 v7, -1
	v_mov_b32_e32 v9, 0
	v_mov_b32_e32 v6, 0
	v_mov_b32_e32 v8, -1
	v_mov_b32_e32 v10, 0
	s_and_saveexec_b64 s[2:3], vcc
	s_cbranch_execz .LBB15_8
; %bb.7:                                ;   in Loop: Header=BB15_6 Depth=1
	global_load_dwordx2 v[7:8], v[3:4], off
	global_load_dwordx2 v[9:10], v[1:2], off
.LBB15_8:                               ;   in Loop: Header=BB15_6 Depth=1
	s_or_b64 exec, exec, s[2:3]
	s_waitcnt vmcnt(1)
	ds_write_b64 v11, v[7:8]
	s_waitcnt vmcnt(0)
	ds_write_b64 v12, v[9:10]
	s_waitcnt lgkmcnt(0)
	s_barrier
	s_and_saveexec_b64 s[2:3], s[10:11]
	s_cbranch_execz .LBB15_12
; %bb.9:                                ;   in Loop: Header=BB15_6 Depth=1
	v_add_u32_e32 v5, -8, v11
	ds_read2_b64 v[5:8], v5 offset1:1
	s_waitcnt lgkmcnt(0)
	v_cmp_eq_u64_e32 vcc, v[7:8], v[5:6]
	v_mov_b32_e32 v5, 0
	v_mov_b32_e32 v6, 0
	s_and_saveexec_b64 s[26:27], vcc
; %bb.10:                               ;   in Loop: Header=BB15_6 Depth=1
	ds_read_b64 v[5:6], v13
; %bb.11:                               ;   in Loop: Header=BB15_6 Depth=1
	s_or_b64 exec, exec, s[26:27]
.LBB15_12:                              ;   in Loop: Header=BB15_6 Depth=1
	s_or_b64 exec, exec, s[2:3]
	s_waitcnt lgkmcnt(0)
	s_barrier
	ds_read_b64 v[7:8], v12
	s_waitcnt lgkmcnt(0)
	v_add_f64 v[9:10], v[5:6], v[7:8]
	v_mov_b32_e32 v5, 0
	v_mov_b32_e32 v7, 0
	;; [unrolled: 1-line block ×4, first 2 shown]
	ds_write_b64 v12, v[9:10]
	s_waitcnt lgkmcnt(0)
	s_barrier
	s_and_saveexec_b64 s[2:3], s[16:17]
	s_cbranch_execz .LBB15_16
; %bb.13:                               ;   in Loop: Header=BB15_6 Depth=1
	v_add_u32_e32 v9, -16, v11
	ds_read_b64 v[7:8], v11
	ds_read_b64 v[9:10], v9
	s_waitcnt lgkmcnt(0)
	v_cmp_eq_u64_e32 vcc, v[7:8], v[9:10]
	v_mov_b32_e32 v7, 0
	v_mov_b32_e32 v8, 0
	s_and_saveexec_b64 s[26:27], vcc
; %bb.14:                               ;   in Loop: Header=BB15_6 Depth=1
	ds_read_b64 v[7:8], v14
; %bb.15:                               ;   in Loop: Header=BB15_6 Depth=1
	s_or_b64 exec, exec, s[26:27]
.LBB15_16:                              ;   in Loop: Header=BB15_6 Depth=1
	s_or_b64 exec, exec, s[2:3]
	s_waitcnt lgkmcnt(0)
	s_barrier
	ds_read_b64 v[9:10], v12
	s_waitcnt lgkmcnt(0)
	v_add_f64 v[7:8], v[7:8], v[9:10]
	ds_write_b64 v12, v[7:8]
	s_waitcnt lgkmcnt(0)
	s_barrier
	s_and_saveexec_b64 s[2:3], s[18:19]
	s_cbranch_execz .LBB15_20
; %bb.17:                               ;   in Loop: Header=BB15_6 Depth=1
	v_subrev_u32_e32 v7, 32, v11
	ds_read_b64 v[5:6], v11
	ds_read_b64 v[7:8], v7
	s_waitcnt lgkmcnt(0)
	v_cmp_eq_u64_e32 vcc, v[5:6], v[7:8]
	v_mov_b32_e32 v5, 0
	v_mov_b32_e32 v6, 0
	s_and_saveexec_b64 s[26:27], vcc
; %bb.18:                               ;   in Loop: Header=BB15_6 Depth=1
	ds_read_b64 v[5:6], v15
; %bb.19:                               ;   in Loop: Header=BB15_6 Depth=1
	s_or_b64 exec, exec, s[26:27]
.LBB15_20:                              ;   in Loop: Header=BB15_6 Depth=1
	s_or_b64 exec, exec, s[2:3]
	s_waitcnt lgkmcnt(0)
	s_barrier
	ds_read_b64 v[7:8], v12
	s_waitcnt lgkmcnt(0)
	v_add_f64 v[9:10], v[5:6], v[7:8]
	v_mov_b32_e32 v5, 0
	v_mov_b32_e32 v7, 0
	;; [unrolled: 1-line block ×4, first 2 shown]
	ds_write_b64 v12, v[9:10]
	s_waitcnt lgkmcnt(0)
	s_barrier
	s_and_saveexec_b64 s[2:3], s[20:21]
	s_cbranch_execz .LBB15_24
; %bb.21:                               ;   in Loop: Header=BB15_6 Depth=1
	ds_read_b64 v[7:8], v11
	ds_read_b64 v[9:10], v16
	s_waitcnt lgkmcnt(0)
	v_cmp_eq_u64_e32 vcc, v[7:8], v[9:10]
	v_mov_b32_e32 v7, 0
	v_mov_b32_e32 v8, 0
	s_and_saveexec_b64 s[26:27], vcc
; %bb.22:                               ;   in Loop: Header=BB15_6 Depth=1
	ds_read_b64 v[7:8], v17
; %bb.23:                               ;   in Loop: Header=BB15_6 Depth=1
	s_or_b64 exec, exec, s[26:27]
.LBB15_24:                              ;   in Loop: Header=BB15_6 Depth=1
	s_or_b64 exec, exec, s[2:3]
	s_waitcnt lgkmcnt(0)
	s_barrier
	ds_read_b64 v[9:10], v12
	s_waitcnt lgkmcnt(0)
	v_add_f64 v[7:8], v[7:8], v[9:10]
	ds_write_b64 v12, v[7:8]
	s_waitcnt lgkmcnt(0)
	s_barrier
	s_and_saveexec_b64 s[2:3], s[22:23]
	s_cbranch_execz .LBB15_28
; %bb.25:                               ;   in Loop: Header=BB15_6 Depth=1
	ds_read_b64 v[5:6], v11
	ds_read_b64 v[7:8], v22
	s_waitcnt lgkmcnt(0)
	v_cmp_eq_u64_e32 vcc, v[5:6], v[7:8]
	v_mov_b32_e32 v5, 0
	v_mov_b32_e32 v6, 0
	s_and_saveexec_b64 s[26:27], vcc
; %bb.26:                               ;   in Loop: Header=BB15_6 Depth=1
	ds_read_b64 v[5:6], v18
; %bb.27:                               ;   in Loop: Header=BB15_6 Depth=1
	s_or_b64 exec, exec, s[26:27]
.LBB15_28:                              ;   in Loop: Header=BB15_6 Depth=1
	s_or_b64 exec, exec, s[2:3]
	s_waitcnt lgkmcnt(0)
	s_barrier
	ds_read_b64 v[7:8], v12
	s_waitcnt lgkmcnt(0)
	v_add_f64 v[9:10], v[5:6], v[7:8]
	v_mov_b32_e32 v5, 0
	v_mov_b32_e32 v7, 0
	;; [unrolled: 1-line block ×4, first 2 shown]
	ds_write_b64 v12, v[9:10]
	s_waitcnt lgkmcnt(0)
	s_barrier
	s_and_saveexec_b64 s[2:3], s[4:5]
	s_cbranch_execz .LBB15_32
; %bb.29:                               ;   in Loop: Header=BB15_6 Depth=1
	ds_read_b64 v[7:8], v11
	ds_read_b64 v[9:10], v23
	s_waitcnt lgkmcnt(0)
	v_cmp_eq_u64_e32 vcc, v[7:8], v[9:10]
	v_mov_b32_e32 v7, 0
	v_mov_b32_e32 v8, 0
	s_and_saveexec_b64 s[26:27], vcc
; %bb.30:                               ;   in Loop: Header=BB15_6 Depth=1
	ds_read_b64 v[7:8], v19
; %bb.31:                               ;   in Loop: Header=BB15_6 Depth=1
	s_or_b64 exec, exec, s[26:27]
.LBB15_32:                              ;   in Loop: Header=BB15_6 Depth=1
	s_or_b64 exec, exec, s[2:3]
	s_waitcnt lgkmcnt(0)
	s_barrier
	ds_read_b64 v[9:10], v12
	s_waitcnt lgkmcnt(0)
	v_add_f64 v[7:8], v[7:8], v[9:10]
	ds_write_b64 v12, v[7:8]
	s_waitcnt lgkmcnt(0)
	s_barrier
	s_and_saveexec_b64 s[2:3], s[12:13]
	s_cbranch_execz .LBB15_36
; %bb.33:                               ;   in Loop: Header=BB15_6 Depth=1
	ds_read_b64 v[5:6], v11
	ds_read_b64 v[7:8], v24
	s_waitcnt lgkmcnt(0)
	v_cmp_eq_u64_e32 vcc, v[5:6], v[7:8]
	v_mov_b32_e32 v5, 0
	v_mov_b32_e32 v6, 0
	s_and_saveexec_b64 s[26:27], vcc
; %bb.34:                               ;   in Loop: Header=BB15_6 Depth=1
	ds_read_b64 v[5:6], v20
; %bb.35:                               ;   in Loop: Header=BB15_6 Depth=1
	s_or_b64 exec, exec, s[26:27]
.LBB15_36:                              ;   in Loop: Header=BB15_6 Depth=1
	s_or_b64 exec, exec, s[2:3]
	s_waitcnt lgkmcnt(0)
	s_barrier
	ds_read_b64 v[7:8], v12
	s_waitcnt lgkmcnt(0)
	v_add_f64 v[7:8], v[5:6], v[7:8]
	v_mov_b32_e32 v5, 0
	v_mov_b32_e32 v6, 0
	ds_write_b64 v12, v[7:8]
	s_waitcnt lgkmcnt(0)
	s_barrier
	s_and_saveexec_b64 s[2:3], s[14:15]
	s_cbranch_execz .LBB15_40
; %bb.37:                               ;   in Loop: Header=BB15_6 Depth=1
	ds_read_b64 v[5:6], v11
	ds_read_b64 v[7:8], v25
	s_waitcnt lgkmcnt(0)
	v_cmp_eq_u64_e32 vcc, v[5:6], v[7:8]
	v_mov_b32_e32 v5, 0
	v_mov_b32_e32 v6, 0
	s_and_saveexec_b64 s[26:27], vcc
; %bb.38:                               ;   in Loop: Header=BB15_6 Depth=1
	ds_read_b64 v[5:6], v21
; %bb.39:                               ;   in Loop: Header=BB15_6 Depth=1
	s_or_b64 exec, exec, s[26:27]
.LBB15_40:                              ;   in Loop: Header=BB15_6 Depth=1
	s_or_b64 exec, exec, s[2:3]
	s_waitcnt lgkmcnt(0)
	s_barrier
	ds_read_b64 v[7:8], v12
	s_waitcnt lgkmcnt(0)
	v_add_f64 v[5:6], v[5:6], v[7:8]
	v_mov_b32_e32 v7, -1
	v_mov_b32_e32 v8, -1
	ds_write_b64 v12, v[5:6]
	s_waitcnt lgkmcnt(0)
	s_barrier
	ds_read_b64 v[5:6], v11
	s_and_saveexec_b64 s[2:3], s[0:1]
; %bb.41:                               ;   in Loop: Header=BB15_6 Depth=1
	ds_read_b64 v[7:8], v11 offset:8
; %bb.42:                               ;   in Loop: Header=BB15_6 Depth=1
	s_or_b64 exec, exec, s[2:3]
	s_waitcnt lgkmcnt(0)
	v_cmp_ne_u64_e32 vcc, v[5:6], v[7:8]
	v_cmp_lt_i64_e64 s[2:3], -1, v[5:6]
	s_and_b64 s[26:27], s[2:3], vcc
	s_and_saveexec_b64 s[2:3], s[26:27]
	s_cbranch_execz .LBB15_5
; %bb.43:                               ;   in Loop: Header=BB15_6 Depth=1
	v_lshlrev_b64 v[5:6], 3, v[5:6]
	v_mov_b32_e32 v7, s7
	v_add_co_u32_e32 v5, vcc, s6, v5
	v_addc_co_u32_e32 v6, vcc, v7, v6, vcc
	global_load_dwordx2 v[7:8], v[5:6], off
	ds_read_b64 v[9:10], v12
	s_waitcnt vmcnt(0) lgkmcnt(0)
	v_add_f64 v[7:8], v[7:8], v[9:10]
	global_store_dwordx2 v[5:6], v[7:8], off
	s_branch .LBB15_5
.LBB15_44:
	s_endpgm
	.section	.rodata,"a",@progbits
	.p2align	6, 0x0
	.amdhsa_kernel _ZN9rocsparseL29coomvn_segmented_loops_reduceILj256ElddEEvT0_NS_24const_host_device_scalarIT2_EEPKS1_PKS3_PT1_b
		.amdhsa_group_segment_fixed_size 4096
		.amdhsa_private_segment_fixed_size 0
		.amdhsa_kernarg_size 44
		.amdhsa_user_sgpr_count 6
		.amdhsa_user_sgpr_private_segment_buffer 1
		.amdhsa_user_sgpr_dispatch_ptr 0
		.amdhsa_user_sgpr_queue_ptr 0
		.amdhsa_user_sgpr_kernarg_segment_ptr 1
		.amdhsa_user_sgpr_dispatch_id 0
		.amdhsa_user_sgpr_flat_scratch_init 0
		.amdhsa_user_sgpr_private_segment_size 0
		.amdhsa_uses_dynamic_stack 0
		.amdhsa_system_sgpr_private_segment_wavefront_offset 0
		.amdhsa_system_sgpr_workgroup_id_x 1
		.amdhsa_system_sgpr_workgroup_id_y 0
		.amdhsa_system_sgpr_workgroup_id_z 0
		.amdhsa_system_sgpr_workgroup_info 0
		.amdhsa_system_vgpr_workitem_id 0
		.amdhsa_next_free_vgpr 26
		.amdhsa_next_free_sgpr 28
		.amdhsa_reserve_vcc 1
		.amdhsa_reserve_flat_scratch 0
		.amdhsa_float_round_mode_32 0
		.amdhsa_float_round_mode_16_64 0
		.amdhsa_float_denorm_mode_32 3
		.amdhsa_float_denorm_mode_16_64 3
		.amdhsa_dx10_clamp 1
		.amdhsa_ieee_mode 1
		.amdhsa_fp16_overflow 0
		.amdhsa_exception_fp_ieee_invalid_op 0
		.amdhsa_exception_fp_denorm_src 0
		.amdhsa_exception_fp_ieee_div_zero 0
		.amdhsa_exception_fp_ieee_overflow 0
		.amdhsa_exception_fp_ieee_underflow 0
		.amdhsa_exception_fp_ieee_inexact 0
		.amdhsa_exception_int_div_zero 0
	.end_amdhsa_kernel
	.section	.text._ZN9rocsparseL29coomvn_segmented_loops_reduceILj256ElddEEvT0_NS_24const_host_device_scalarIT2_EEPKS1_PKS3_PT1_b,"axG",@progbits,_ZN9rocsparseL29coomvn_segmented_loops_reduceILj256ElddEEvT0_NS_24const_host_device_scalarIT2_EEPKS1_PKS3_PT1_b,comdat
.Lfunc_end15:
	.size	_ZN9rocsparseL29coomvn_segmented_loops_reduceILj256ElddEEvT0_NS_24const_host_device_scalarIT2_EEPKS1_PKS3_PT1_b, .Lfunc_end15-_ZN9rocsparseL29coomvn_segmented_loops_reduceILj256ElddEEvT0_NS_24const_host_device_scalarIT2_EEPKS1_PKS3_PT1_b
                                        ; -- End function
	.set _ZN9rocsparseL29coomvn_segmented_loops_reduceILj256ElddEEvT0_NS_24const_host_device_scalarIT2_EEPKS1_PKS3_PT1_b.num_vgpr, 26
	.set _ZN9rocsparseL29coomvn_segmented_loops_reduceILj256ElddEEvT0_NS_24const_host_device_scalarIT2_EEPKS1_PKS3_PT1_b.num_agpr, 0
	.set _ZN9rocsparseL29coomvn_segmented_loops_reduceILj256ElddEEvT0_NS_24const_host_device_scalarIT2_EEPKS1_PKS3_PT1_b.numbered_sgpr, 28
	.set _ZN9rocsparseL29coomvn_segmented_loops_reduceILj256ElddEEvT0_NS_24const_host_device_scalarIT2_EEPKS1_PKS3_PT1_b.num_named_barrier, 0
	.set _ZN9rocsparseL29coomvn_segmented_loops_reduceILj256ElddEEvT0_NS_24const_host_device_scalarIT2_EEPKS1_PKS3_PT1_b.private_seg_size, 0
	.set _ZN9rocsparseL29coomvn_segmented_loops_reduceILj256ElddEEvT0_NS_24const_host_device_scalarIT2_EEPKS1_PKS3_PT1_b.uses_vcc, 1
	.set _ZN9rocsparseL29coomvn_segmented_loops_reduceILj256ElddEEvT0_NS_24const_host_device_scalarIT2_EEPKS1_PKS3_PT1_b.uses_flat_scratch, 0
	.set _ZN9rocsparseL29coomvn_segmented_loops_reduceILj256ElddEEvT0_NS_24const_host_device_scalarIT2_EEPKS1_PKS3_PT1_b.has_dyn_sized_stack, 0
	.set _ZN9rocsparseL29coomvn_segmented_loops_reduceILj256ElddEEvT0_NS_24const_host_device_scalarIT2_EEPKS1_PKS3_PT1_b.has_recursion, 0
	.set _ZN9rocsparseL29coomvn_segmented_loops_reduceILj256ElddEEvT0_NS_24const_host_device_scalarIT2_EEPKS1_PKS3_PT1_b.has_indirect_call, 0
	.section	.AMDGPU.csdata,"",@progbits
; Kernel info:
; codeLenInByte = 1556
; TotalNumSgprs: 32
; NumVgprs: 26
; ScratchSize: 0
; MemoryBound: 0
; FloatMode: 240
; IeeeMode: 1
; LDSByteSize: 4096 bytes/workgroup (compile time only)
; SGPRBlocks: 3
; VGPRBlocks: 6
; NumSGPRsForWavesPerEU: 32
; NumVGPRsForWavesPerEU: 26
; Occupancy: 9
; WaveLimiterHint : 0
; COMPUTE_PGM_RSRC2:SCRATCH_EN: 0
; COMPUTE_PGM_RSRC2:USER_SGPR: 6
; COMPUTE_PGM_RSRC2:TRAP_HANDLER: 0
; COMPUTE_PGM_RSRC2:TGID_X_EN: 1
; COMPUTE_PGM_RSRC2:TGID_Y_EN: 0
; COMPUTE_PGM_RSRC2:TGID_Z_EN: 0
; COMPUTE_PGM_RSRC2:TIDIG_COMP_CNT: 0
	.section	.text._ZN9rocsparseL23coomvn_aos_atomic_loopsILj256ELj1Ei21rocsparse_complex_numIfES2_S2_S2_EEvlNS_24const_host_device_scalarIT5_EEPKT1_PKT2_PKT3_PT4_21rocsparse_index_base_b,"axG",@progbits,_ZN9rocsparseL23coomvn_aos_atomic_loopsILj256ELj1Ei21rocsparse_complex_numIfES2_S2_S2_EEvlNS_24const_host_device_scalarIT5_EEPKT1_PKT2_PKT3_PT4_21rocsparse_index_base_b,comdat
	.globl	_ZN9rocsparseL23coomvn_aos_atomic_loopsILj256ELj1Ei21rocsparse_complex_numIfES2_S2_S2_EEvlNS_24const_host_device_scalarIT5_EEPKT1_PKT2_PKT3_PT4_21rocsparse_index_base_b ; -- Begin function _ZN9rocsparseL23coomvn_aos_atomic_loopsILj256ELj1Ei21rocsparse_complex_numIfES2_S2_S2_EEvlNS_24const_host_device_scalarIT5_EEPKT1_PKT2_PKT3_PT4_21rocsparse_index_base_b
	.p2align	8
	.type	_ZN9rocsparseL23coomvn_aos_atomic_loopsILj256ELj1Ei21rocsparse_complex_numIfES2_S2_S2_EEvlNS_24const_host_device_scalarIT5_EEPKT1_PKT2_PKT3_PT4_21rocsparse_index_base_b,@function
_ZN9rocsparseL23coomvn_aos_atomic_loopsILj256ELj1Ei21rocsparse_complex_numIfES2_S2_S2_EEvlNS_24const_host_device_scalarIT5_EEPKT1_PKT2_PKT3_PT4_21rocsparse_index_base_b: ; @_ZN9rocsparseL23coomvn_aos_atomic_loopsILj256ELj1Ei21rocsparse_complex_numIfES2_S2_S2_EEvlNS_24const_host_device_scalarIT5_EEPKT1_PKT2_PKT3_PT4_21rocsparse_index_base_b
; %bb.0:
	s_load_dwordx2 s[2:3], s[4:5], 0x30
	s_load_dwordx4 s[8:11], s[4:5], 0x0
	s_or_b32 s0, s4, 8
	s_waitcnt lgkmcnt(0)
	s_bitcmp1_b32 s3, 0
	s_cselect_b32 s1, s5, s11
	s_cselect_b32 s0, s0, s10
	v_mov_b32_e32 v1, s0
	v_mov_b32_e32 v2, s1
	flat_load_dwordx2 v[1:2], v[1:2]
	s_waitcnt vmcnt(0) lgkmcnt(0)
	v_cmp_neq_f32_e32 vcc, 0, v1
	v_cmp_neq_f32_e64 s[0:1], 0, v2
	s_or_b64 s[0:1], vcc, s[0:1]
	s_and_saveexec_b64 s[10:11], s[0:1]
	s_cbranch_execz .LBB16_46
; %bb.1:
	v_lshl_or_b32 v6, s6, 8, v0
	v_mov_b32_e32 v7, 0
	v_cmp_gt_i64_e32 vcc, s[8:9], v[6:7]
	v_mov_b32_e32 v5, -1
	v_mov_b32_e32 v3, v7
	v_mov_b32_e32 v4, v7
	s_and_saveexec_b64 s[0:1], vcc
	s_cbranch_execz .LBB16_3
; %bb.2:
	s_load_dwordx4 s[8:11], s[4:5], 0x10
	s_load_dwordx2 s[6:7], s[4:5], 0x20
	v_lshlrev_b64 v[3:4], 3, v[6:7]
	s_waitcnt lgkmcnt(0)
	v_mov_b32_e32 v6, s9
	v_add_co_u32_e32 v5, vcc, s8, v3
	v_addc_co_u32_e32 v6, vcc, v6, v4, vcc
	global_load_dwordx2 v[5:6], v[5:6], off glc slc
	v_mov_b32_e32 v7, s11
	v_add_co_u32_e32 v3, vcc, s10, v3
	v_addc_co_u32_e32 v4, vcc, v7, v4, vcc
	global_load_dwordx2 v[7:8], v[3:4], off glc slc
	v_mov_b32_e32 v9, s7
	s_waitcnt vmcnt(1)
	v_subrev_u32_e32 v3, s2, v6
	v_ashrrev_i32_e32 v4, 31, v3
	v_lshlrev_b64 v[3:4], 3, v[3:4]
	v_subrev_u32_e32 v5, s2, v5
	v_add_co_u32_e32 v3, vcc, s6, v3
	v_addc_co_u32_e32 v4, vcc, v9, v4, vcc
	global_load_dwordx2 v[9:10], v[3:4], off
	s_waitcnt vmcnt(0)
	v_mul_f32_e64 v3, v10, -v8
	v_mul_f32_e32 v4, v7, v10
	v_fmac_f32_e32 v3, v7, v9
	v_fmac_f32_e32 v4, v8, v9
.LBB16_3:
	s_or_b64 exec, exec, s[0:1]
	v_lshlrev_b32_e32 v7, 2, v0
	v_or_b32_e32 v6, 0x800, v7
	ds_write_b32 v7, v5 offset:2048
	v_lshlrev_b32_e32 v7, 3, v0
	v_cmp_ne_u32_e32 vcc, 0, v0
	ds_write_b64 v7, v[3:4]
	s_waitcnt lgkmcnt(0)
	s_barrier
	s_and_saveexec_b64 s[0:1], vcc
	s_cbranch_execz .LBB16_7
; %bb.4:
	v_add_u32_e32 v8, -4, v6
	ds_read_b32 v8, v8
	s_waitcnt lgkmcnt(0)
	v_cmp_eq_u32_e32 vcc, v5, v8
	s_and_saveexec_b64 s[2:3], vcc
	s_cbranch_execz .LBB16_6
; %bb.5:
	v_add_u32_e32 v8, -8, v7
	ds_read_b64 v[8:9], v8
	s_waitcnt lgkmcnt(0)
	v_add_f32_e32 v3, v3, v8
	v_add_f32_e32 v4, v4, v9
.LBB16_6:
	s_or_b64 exec, exec, s[2:3]
.LBB16_7:
	s_or_b64 exec, exec, s[0:1]
	v_cmp_lt_u32_e32 vcc, 1, v0
	s_barrier
	ds_write_b64 v7, v[3:4]
	s_waitcnt lgkmcnt(0)
	s_barrier
	s_and_saveexec_b64 s[0:1], vcc
	s_cbranch_execz .LBB16_11
; %bb.8:
	v_add_u32_e32 v8, -8, v6
	ds_read_b32 v8, v8
	s_waitcnt lgkmcnt(0)
	v_cmp_eq_u32_e32 vcc, v5, v8
	s_and_saveexec_b64 s[2:3], vcc
	s_cbranch_execz .LBB16_10
; %bb.9:
	v_add_u32_e32 v8, -16, v7
	ds_read_b64 v[8:9], v8
	s_waitcnt lgkmcnt(0)
	v_add_f32_e32 v3, v3, v8
	v_add_f32_e32 v4, v4, v9
.LBB16_10:
	s_or_b64 exec, exec, s[2:3]
.LBB16_11:
	s_or_b64 exec, exec, s[0:1]
	v_cmp_lt_u32_e32 vcc, 3, v0
	s_barrier
	ds_write_b64 v7, v[3:4]
	s_waitcnt lgkmcnt(0)
	s_barrier
	s_and_saveexec_b64 s[0:1], vcc
	s_cbranch_execz .LBB16_15
; %bb.12:
	v_add_u32_e32 v8, -16, v6
	ds_read_b32 v8, v8
	s_waitcnt lgkmcnt(0)
	v_cmp_eq_u32_e32 vcc, v5, v8
	s_and_saveexec_b64 s[2:3], vcc
	s_cbranch_execz .LBB16_14
; %bb.13:
	v_subrev_u32_e32 v8, 32, v7
	ds_read_b64 v[8:9], v8
	s_waitcnt lgkmcnt(0)
	v_add_f32_e32 v3, v3, v8
	v_add_f32_e32 v4, v4, v9
.LBB16_14:
	s_or_b64 exec, exec, s[2:3]
.LBB16_15:
	s_or_b64 exec, exec, s[0:1]
	v_cmp_lt_u32_e32 vcc, 7, v0
	s_barrier
	ds_write_b64 v7, v[3:4]
	s_waitcnt lgkmcnt(0)
	s_barrier
	s_and_saveexec_b64 s[0:1], vcc
	s_cbranch_execz .LBB16_19
; %bb.16:
	v_subrev_u32_e32 v8, 32, v6
	ds_read_b32 v8, v8
	s_waitcnt lgkmcnt(0)
	v_cmp_eq_u32_e32 vcc, v5, v8
	s_and_saveexec_b64 s[2:3], vcc
	s_cbranch_execz .LBB16_18
; %bb.17:
	v_subrev_u32_e32 v8, 64, v7
	ds_read_b64 v[8:9], v8
	s_waitcnt lgkmcnt(0)
	v_add_f32_e32 v3, v3, v8
	v_add_f32_e32 v4, v4, v9
.LBB16_18:
	s_or_b64 exec, exec, s[2:3]
.LBB16_19:
	s_or_b64 exec, exec, s[0:1]
	v_cmp_lt_u32_e32 vcc, 15, v0
	s_barrier
	ds_write_b64 v7, v[3:4]
	s_waitcnt lgkmcnt(0)
	s_barrier
	s_and_saveexec_b64 s[0:1], vcc
	s_cbranch_execz .LBB16_23
; %bb.20:
	v_subrev_u32_e32 v8, 64, v6
	ds_read_b32 v8, v8
	s_waitcnt lgkmcnt(0)
	v_cmp_eq_u32_e32 vcc, v5, v8
	s_and_saveexec_b64 s[2:3], vcc
	s_cbranch_execz .LBB16_22
; %bb.21:
	v_add_u32_e32 v8, 0xffffff80, v7
	ds_read_b64 v[8:9], v8
	s_waitcnt lgkmcnt(0)
	v_add_f32_e32 v3, v3, v8
	v_add_f32_e32 v4, v4, v9
.LBB16_22:
	s_or_b64 exec, exec, s[2:3]
.LBB16_23:
	s_or_b64 exec, exec, s[0:1]
	v_cmp_lt_u32_e32 vcc, 31, v0
	s_barrier
	ds_write_b64 v7, v[3:4]
	s_waitcnt lgkmcnt(0)
	s_barrier
	s_and_saveexec_b64 s[0:1], vcc
	s_cbranch_execz .LBB16_27
; %bb.24:
	v_add_u32_e32 v8, 0xffffff80, v6
	ds_read_b32 v8, v8
	s_waitcnt lgkmcnt(0)
	v_cmp_eq_u32_e32 vcc, v5, v8
	s_and_saveexec_b64 s[2:3], vcc
	s_cbranch_execz .LBB16_26
; %bb.25:
	v_add_u32_e32 v8, 0xffffff00, v7
	ds_read_b64 v[8:9], v8
	s_waitcnt lgkmcnt(0)
	v_add_f32_e32 v3, v3, v8
	v_add_f32_e32 v4, v4, v9
.LBB16_26:
	s_or_b64 exec, exec, s[2:3]
.LBB16_27:
	s_or_b64 exec, exec, s[0:1]
	v_cmp_lt_u32_e32 vcc, 63, v0
	s_barrier
	ds_write_b64 v7, v[3:4]
	s_waitcnt lgkmcnt(0)
	s_barrier
	s_and_saveexec_b64 s[0:1], vcc
	s_cbranch_execz .LBB16_31
; %bb.28:
	v_add_u32_e32 v8, 0xffffff00, v6
	ds_read_b32 v8, v8
	s_waitcnt lgkmcnt(0)
	v_cmp_eq_u32_e32 vcc, v5, v8
	s_and_saveexec_b64 s[2:3], vcc
	s_cbranch_execz .LBB16_30
; %bb.29:
	v_add_u32_e32 v8, 0xfffffe00, v7
	ds_read_b64 v[8:9], v8
	s_waitcnt lgkmcnt(0)
	v_add_f32_e32 v3, v3, v8
	v_add_f32_e32 v4, v4, v9
.LBB16_30:
	s_or_b64 exec, exec, s[2:3]
.LBB16_31:
	s_or_b64 exec, exec, s[0:1]
	s_load_dwordx2 s[2:3], s[4:5], 0x28
	s_movk_i32 s0, 0x7f
	v_cmp_lt_u32_e32 vcc, s0, v0
	s_waitcnt lgkmcnt(0)
	s_barrier
	ds_write_b64 v7, v[3:4]
	s_waitcnt lgkmcnt(0)
	s_barrier
	s_and_saveexec_b64 s[0:1], vcc
	s_cbranch_execz .LBB16_35
; %bb.32:
	v_add_u32_e32 v8, 0xfffffe00, v6
	ds_read_b32 v8, v8
	s_waitcnt lgkmcnt(0)
	v_cmp_eq_u32_e32 vcc, v5, v8
	s_and_saveexec_b64 s[4:5], vcc
	s_cbranch_execz .LBB16_34
; %bb.33:
	v_add_u32_e32 v8, 0xfffffc00, v7
	ds_read_b64 v[8:9], v8
	s_waitcnt lgkmcnt(0)
	v_add_f32_e32 v3, v3, v8
	v_add_f32_e32 v4, v4, v9
.LBB16_34:
	s_or_b64 exec, exec, s[4:5]
.LBB16_35:
	s_or_b64 exec, exec, s[0:1]
	s_movk_i32 s6, 0xff
	v_cmp_gt_u32_e32 vcc, s6, v0
	s_barrier
	ds_write_b64 v7, v[3:4]
	s_waitcnt lgkmcnt(0)
	s_barrier
	s_and_saveexec_b64 s[4:5], vcc
	s_cbranch_execz .LBB16_41
; %bb.36:
	ds_read_b32 v6, v6 offset:4
	v_cmp_lt_i32_e64 s[0:1], -1, v5
	s_waitcnt lgkmcnt(0)
	v_cmp_ne_u32_e32 vcc, v5, v6
	s_and_b64 s[0:1], s[0:1], vcc
	s_and_b64 exec, exec, s[0:1]
	s_cbranch_execz .LBB16_41
; %bb.37:
	v_mov_b32_e32 v6, 0
	v_lshlrev_b64 v[6:7], 3, v[5:6]
	v_mov_b32_e32 v8, s3
	v_add_co_u32_e32 v6, vcc, s2, v6
	v_addc_co_u32_e32 v7, vcc, v8, v7, vcc
	global_load_dword v9, v[6:7], off
	v_mul_f32_e64 v10, v4, -v2
	v_fmac_f32_e32 v10, v1, v3
	s_mov_b64 s[0:1], 0
.LBB16_38:                              ; =>This Inner Loop Header: Depth=1
	s_waitcnt vmcnt(0)
	v_add_f32_e32 v8, v9, v10
	global_atomic_cmpswap v8, v[6:7], v[8:9], off glc
	s_waitcnt vmcnt(0)
	v_cmp_eq_u32_e32 vcc, v8, v9
	s_or_b64 s[0:1], vcc, s[0:1]
	v_mov_b32_e32 v9, v8
	s_andn2_b64 exec, exec, s[0:1]
	s_cbranch_execnz .LBB16_38
; %bb.39:
	s_or_b64 exec, exec, s[0:1]
	global_load_dword v9, v[6:7], off offset:4
	v_mul_f32_e32 v10, v1, v4
	v_fmac_f32_e32 v10, v2, v3
	s_mov_b64 s[0:1], 0
.LBB16_40:                              ; =>This Inner Loop Header: Depth=1
	s_waitcnt vmcnt(0)
	v_add_f32_e32 v8, v9, v10
	global_atomic_cmpswap v8, v[6:7], v[8:9], off offset:4 glc
	s_waitcnt vmcnt(0)
	v_cmp_eq_u32_e32 vcc, v8, v9
	s_or_b64 s[0:1], vcc, s[0:1]
	v_mov_b32_e32 v9, v8
	s_andn2_b64 exec, exec, s[0:1]
	s_cbranch_execnz .LBB16_40
.LBB16_41:
	s_or_b64 exec, exec, s[4:5]
	v_cmp_eq_u32_e32 vcc, s6, v0
	v_cmp_lt_i32_e64 s[0:1], -1, v5
	s_and_b64 s[0:1], vcc, s[0:1]
	s_and_b64 exec, exec, s[0:1]
	s_cbranch_execz .LBB16_46
; %bb.42:
	v_mov_b32_e32 v6, 0
	v_lshlrev_b64 v[5:6], 3, v[5:6]
	v_mov_b32_e32 v0, s3
	v_add_co_u32_e32 v5, vcc, s2, v5
	v_addc_co_u32_e32 v6, vcc, v0, v6, vcc
	global_load_dword v8, v[5:6], off
	v_mul_f32_e64 v0, v4, -v2
	v_fmac_f32_e32 v0, v1, v3
	s_mov_b64 s[0:1], 0
.LBB16_43:                              ; =>This Inner Loop Header: Depth=1
	s_waitcnt vmcnt(0)
	v_add_f32_e32 v7, v8, v0
	global_atomic_cmpswap v7, v[5:6], v[7:8], off glc
	s_waitcnt vmcnt(0)
	v_cmp_eq_u32_e32 vcc, v7, v8
	s_or_b64 s[0:1], vcc, s[0:1]
	v_mov_b32_e32 v8, v7
	s_andn2_b64 exec, exec, s[0:1]
	s_cbranch_execnz .LBB16_43
; %bb.44:
	s_or_b64 exec, exec, s[0:1]
	global_load_dword v8, v[5:6], off offset:4
	v_mul_f32_e32 v0, v1, v4
	v_fmac_f32_e32 v0, v2, v3
	s_mov_b64 s[0:1], 0
.LBB16_45:                              ; =>This Inner Loop Header: Depth=1
	s_waitcnt vmcnt(0)
	v_add_f32_e32 v7, v8, v0
	global_atomic_cmpswap v1, v[5:6], v[7:8], off offset:4 glc
	s_waitcnt vmcnt(0)
	v_cmp_eq_u32_e32 vcc, v1, v8
	s_or_b64 s[0:1], vcc, s[0:1]
	v_mov_b32_e32 v8, v1
	s_andn2_b64 exec, exec, s[0:1]
	s_cbranch_execnz .LBB16_45
.LBB16_46:
	s_endpgm
	.section	.rodata,"a",@progbits
	.p2align	6, 0x0
	.amdhsa_kernel _ZN9rocsparseL23coomvn_aos_atomic_loopsILj256ELj1Ei21rocsparse_complex_numIfES2_S2_S2_EEvlNS_24const_host_device_scalarIT5_EEPKT1_PKT2_PKT3_PT4_21rocsparse_index_base_b
		.amdhsa_group_segment_fixed_size 3072
		.amdhsa_private_segment_fixed_size 0
		.amdhsa_kernarg_size 56
		.amdhsa_user_sgpr_count 6
		.amdhsa_user_sgpr_private_segment_buffer 1
		.amdhsa_user_sgpr_dispatch_ptr 0
		.amdhsa_user_sgpr_queue_ptr 0
		.amdhsa_user_sgpr_kernarg_segment_ptr 1
		.amdhsa_user_sgpr_dispatch_id 0
		.amdhsa_user_sgpr_flat_scratch_init 0
		.amdhsa_user_sgpr_private_segment_size 0
		.amdhsa_uses_dynamic_stack 0
		.amdhsa_system_sgpr_private_segment_wavefront_offset 0
		.amdhsa_system_sgpr_workgroup_id_x 1
		.amdhsa_system_sgpr_workgroup_id_y 0
		.amdhsa_system_sgpr_workgroup_id_z 0
		.amdhsa_system_sgpr_workgroup_info 0
		.amdhsa_system_vgpr_workitem_id 0
		.amdhsa_next_free_vgpr 11
		.amdhsa_next_free_sgpr 12
		.amdhsa_reserve_vcc 1
		.amdhsa_reserve_flat_scratch 0
		.amdhsa_float_round_mode_32 0
		.amdhsa_float_round_mode_16_64 0
		.amdhsa_float_denorm_mode_32 3
		.amdhsa_float_denorm_mode_16_64 3
		.amdhsa_dx10_clamp 1
		.amdhsa_ieee_mode 1
		.amdhsa_fp16_overflow 0
		.amdhsa_exception_fp_ieee_invalid_op 0
		.amdhsa_exception_fp_denorm_src 0
		.amdhsa_exception_fp_ieee_div_zero 0
		.amdhsa_exception_fp_ieee_overflow 0
		.amdhsa_exception_fp_ieee_underflow 0
		.amdhsa_exception_fp_ieee_inexact 0
		.amdhsa_exception_int_div_zero 0
	.end_amdhsa_kernel
	.section	.text._ZN9rocsparseL23coomvn_aos_atomic_loopsILj256ELj1Ei21rocsparse_complex_numIfES2_S2_S2_EEvlNS_24const_host_device_scalarIT5_EEPKT1_PKT2_PKT3_PT4_21rocsparse_index_base_b,"axG",@progbits,_ZN9rocsparseL23coomvn_aos_atomic_loopsILj256ELj1Ei21rocsparse_complex_numIfES2_S2_S2_EEvlNS_24const_host_device_scalarIT5_EEPKT1_PKT2_PKT3_PT4_21rocsparse_index_base_b,comdat
.Lfunc_end16:
	.size	_ZN9rocsparseL23coomvn_aos_atomic_loopsILj256ELj1Ei21rocsparse_complex_numIfES2_S2_S2_EEvlNS_24const_host_device_scalarIT5_EEPKT1_PKT2_PKT3_PT4_21rocsparse_index_base_b, .Lfunc_end16-_ZN9rocsparseL23coomvn_aos_atomic_loopsILj256ELj1Ei21rocsparse_complex_numIfES2_S2_S2_EEvlNS_24const_host_device_scalarIT5_EEPKT1_PKT2_PKT3_PT4_21rocsparse_index_base_b
                                        ; -- End function
	.set _ZN9rocsparseL23coomvn_aos_atomic_loopsILj256ELj1Ei21rocsparse_complex_numIfES2_S2_S2_EEvlNS_24const_host_device_scalarIT5_EEPKT1_PKT2_PKT3_PT4_21rocsparse_index_base_b.num_vgpr, 11
	.set _ZN9rocsparseL23coomvn_aos_atomic_loopsILj256ELj1Ei21rocsparse_complex_numIfES2_S2_S2_EEvlNS_24const_host_device_scalarIT5_EEPKT1_PKT2_PKT3_PT4_21rocsparse_index_base_b.num_agpr, 0
	.set _ZN9rocsparseL23coomvn_aos_atomic_loopsILj256ELj1Ei21rocsparse_complex_numIfES2_S2_S2_EEvlNS_24const_host_device_scalarIT5_EEPKT1_PKT2_PKT3_PT4_21rocsparse_index_base_b.numbered_sgpr, 12
	.set _ZN9rocsparseL23coomvn_aos_atomic_loopsILj256ELj1Ei21rocsparse_complex_numIfES2_S2_S2_EEvlNS_24const_host_device_scalarIT5_EEPKT1_PKT2_PKT3_PT4_21rocsparse_index_base_b.num_named_barrier, 0
	.set _ZN9rocsparseL23coomvn_aos_atomic_loopsILj256ELj1Ei21rocsparse_complex_numIfES2_S2_S2_EEvlNS_24const_host_device_scalarIT5_EEPKT1_PKT2_PKT3_PT4_21rocsparse_index_base_b.private_seg_size, 0
	.set _ZN9rocsparseL23coomvn_aos_atomic_loopsILj256ELj1Ei21rocsparse_complex_numIfES2_S2_S2_EEvlNS_24const_host_device_scalarIT5_EEPKT1_PKT2_PKT3_PT4_21rocsparse_index_base_b.uses_vcc, 1
	.set _ZN9rocsparseL23coomvn_aos_atomic_loopsILj256ELj1Ei21rocsparse_complex_numIfES2_S2_S2_EEvlNS_24const_host_device_scalarIT5_EEPKT1_PKT2_PKT3_PT4_21rocsparse_index_base_b.uses_flat_scratch, 0
	.set _ZN9rocsparseL23coomvn_aos_atomic_loopsILj256ELj1Ei21rocsparse_complex_numIfES2_S2_S2_EEvlNS_24const_host_device_scalarIT5_EEPKT1_PKT2_PKT3_PT4_21rocsparse_index_base_b.has_dyn_sized_stack, 0
	.set _ZN9rocsparseL23coomvn_aos_atomic_loopsILj256ELj1Ei21rocsparse_complex_numIfES2_S2_S2_EEvlNS_24const_host_device_scalarIT5_EEPKT1_PKT2_PKT3_PT4_21rocsparse_index_base_b.has_recursion, 0
	.set _ZN9rocsparseL23coomvn_aos_atomic_loopsILj256ELj1Ei21rocsparse_complex_numIfES2_S2_S2_EEvlNS_24const_host_device_scalarIT5_EEPKT1_PKT2_PKT3_PT4_21rocsparse_index_base_b.has_indirect_call, 0
	.section	.AMDGPU.csdata,"",@progbits
; Kernel info:
; codeLenInByte = 1464
; TotalNumSgprs: 16
; NumVgprs: 11
; ScratchSize: 0
; MemoryBound: 0
; FloatMode: 240
; IeeeMode: 1
; LDSByteSize: 3072 bytes/workgroup (compile time only)
; SGPRBlocks: 1
; VGPRBlocks: 2
; NumSGPRsForWavesPerEU: 16
; NumVGPRsForWavesPerEU: 11
; Occupancy: 10
; WaveLimiterHint : 1
; COMPUTE_PGM_RSRC2:SCRATCH_EN: 0
; COMPUTE_PGM_RSRC2:USER_SGPR: 6
; COMPUTE_PGM_RSRC2:TRAP_HANDLER: 0
; COMPUTE_PGM_RSRC2:TGID_X_EN: 1
; COMPUTE_PGM_RSRC2:TGID_Y_EN: 0
; COMPUTE_PGM_RSRC2:TGID_Z_EN: 0
; COMPUTE_PGM_RSRC2:TIDIG_COMP_CNT: 0
	.section	.text._ZN9rocsparseL17coomvt_aos_kernelILj1024Ei21rocsparse_complex_numIfES2_S2_S2_EEv20rocsparse_operation_lNS_24const_host_device_scalarIT4_EEPKT0_PKT1_PKT2_PT3_21rocsparse_index_base_b,"axG",@progbits,_ZN9rocsparseL17coomvt_aos_kernelILj1024Ei21rocsparse_complex_numIfES2_S2_S2_EEv20rocsparse_operation_lNS_24const_host_device_scalarIT4_EEPKT0_PKT1_PKT2_PT3_21rocsparse_index_base_b,comdat
	.globl	_ZN9rocsparseL17coomvt_aos_kernelILj1024Ei21rocsparse_complex_numIfES2_S2_S2_EEv20rocsparse_operation_lNS_24const_host_device_scalarIT4_EEPKT0_PKT1_PKT2_PT3_21rocsparse_index_base_b ; -- Begin function _ZN9rocsparseL17coomvt_aos_kernelILj1024Ei21rocsparse_complex_numIfES2_S2_S2_EEv20rocsparse_operation_lNS_24const_host_device_scalarIT4_EEPKT0_PKT1_PKT2_PT3_21rocsparse_index_base_b
	.p2align	8
	.type	_ZN9rocsparseL17coomvt_aos_kernelILj1024Ei21rocsparse_complex_numIfES2_S2_S2_EEv20rocsparse_operation_lNS_24const_host_device_scalarIT4_EEPKT0_PKT1_PKT2_PT3_21rocsparse_index_base_b,@function
_ZN9rocsparseL17coomvt_aos_kernelILj1024Ei21rocsparse_complex_numIfES2_S2_S2_EEv20rocsparse_operation_lNS_24const_host_device_scalarIT4_EEPKT0_PKT1_PKT2_PT3_21rocsparse_index_base_b: ; @_ZN9rocsparseL17coomvt_aos_kernelILj1024Ei21rocsparse_complex_numIfES2_S2_S2_EEv20rocsparse_operation_lNS_24const_host_device_scalarIT4_EEPKT0_PKT1_PKT2_PT3_21rocsparse_index_base_b
; %bb.0:
	s_load_dwordx2 s[2:3], s[4:5], 0x38
	s_load_dwordx4 s[8:11], s[4:5], 0x8
	s_add_u32 s0, s4, 16
	s_addc_u32 s1, s5, 0
	s_waitcnt lgkmcnt(0)
	s_bitcmp1_b32 s3, 0
	s_cselect_b32 s1, s1, s11
	s_cselect_b32 s0, s0, s10
	v_mov_b32_e32 v1, s0
	v_mov_b32_e32 v2, s1
	flat_load_dwordx2 v[1:2], v[1:2]
	s_waitcnt vmcnt(0) lgkmcnt(0)
	v_cmp_neq_f32_e32 vcc, 0, v1
	v_cmp_neq_f32_e64 s[0:1], 0, v2
	s_or_b64 s[0:1], vcc, s[0:1]
	s_and_saveexec_b64 s[10:11], s[0:1]
	s_cbranch_execz .LBB17_6
; %bb.1:
	s_load_dword s0, s[4:5], 0x4c
	v_mov_b32_e32 v4, 0
	s_waitcnt lgkmcnt(0)
	s_and_b32 s0, s0, 0xffff
	s_mul_i32 s6, s6, s0
	v_add_u32_e32 v3, s6, v0
	v_cmp_gt_i64_e32 vcc, s[8:9], v[3:4]
	s_and_b64 exec, exec, vcc
	s_cbranch_execz .LBB17_6
; %bb.2:
	s_load_dwordx8 s[8:15], s[4:5], 0x18
	v_lshlrev_b64 v[3:4], 3, v[3:4]
	s_load_dword s0, s[4:5], 0x0
	s_waitcnt lgkmcnt(0)
	v_mov_b32_e32 v0, s9
	v_add_co_u32_e32 v5, vcc, s8, v3
	v_addc_co_u32_e32 v6, vcc, v0, v4, vcc
	global_load_dwordx2 v[5:6], v[5:6], off
	v_mov_b32_e32 v0, s11
	v_add_co_u32_e32 v3, vcc, s10, v3
	v_addc_co_u32_e32 v4, vcc, v0, v4, vcc
	global_load_dwordx2 v[10:11], v[3:4], off
	v_mov_b32_e32 v12, s13
	v_mov_b32_e32 v9, s15
	s_cmpk_eq_i32 s0, 0x71
	s_cselect_b64 s[0:1], -1, 0
	s_waitcnt vmcnt(1)
	v_subrev_u32_e32 v3, s2, v5
	v_ashrrev_i32_e32 v4, 31, v3
	v_subrev_u32_e32 v5, s2, v6
	v_lshlrev_b64 v[3:4], 3, v[3:4]
	v_ashrrev_i32_e32 v6, 31, v5
	v_lshlrev_b64 v[7:8], 3, v[5:6]
	v_add_co_u32_e32 v3, vcc, s12, v3
	v_addc_co_u32_e32 v4, vcc, v12, v4, vcc
	global_load_dwordx2 v[5:6], v[3:4], off
	v_add_co_u32_e32 v3, vcc, s14, v7
	v_addc_co_u32_e32 v4, vcc, v9, v8, vcc
	global_load_dword v8, v[3:4], off
	s_waitcnt vmcnt(2)
	v_cndmask_b32_e64 v7, v11, -v11, s[0:1]
	v_mul_f32_e32 v9, v1, v7
	v_mul_f32_e64 v0, v7, -v2
	v_fmac_f32_e32 v9, v2, v10
	v_fmac_f32_e32 v0, v1, v10
	s_mov_b64 s[0:1], 0
	s_waitcnt vmcnt(1)
	v_mul_f32_e64 v1, v6, -v9
	v_fmac_f32_e32 v1, v0, v5
.LBB17_3:                               ; =>This Inner Loop Header: Depth=1
	s_waitcnt vmcnt(0)
	v_add_f32_e32 v7, v8, v1
	global_atomic_cmpswap v2, v[3:4], v[7:8], off glc
	s_waitcnt vmcnt(0)
	v_cmp_eq_u32_e32 vcc, v2, v8
	s_or_b64 s[0:1], vcc, s[0:1]
	v_mov_b32_e32 v8, v2
	s_andn2_b64 exec, exec, s[0:1]
	s_cbranch_execnz .LBB17_3
; %bb.4:
	s_or_b64 exec, exec, s[0:1]
	global_load_dword v1, v[3:4], off offset:4
	v_mul_f32_e32 v2, v0, v6
	v_fmac_f32_e32 v2, v9, v5
	s_mov_b64 s[0:1], 0
.LBB17_5:                               ; =>This Inner Loop Header: Depth=1
	s_waitcnt vmcnt(0)
	v_add_f32_e32 v0, v1, v2
	global_atomic_cmpswap v0, v[3:4], v[0:1], off offset:4 glc
	s_waitcnt vmcnt(0)
	v_cmp_eq_u32_e32 vcc, v0, v1
	s_or_b64 s[0:1], vcc, s[0:1]
	v_mov_b32_e32 v1, v0
	s_andn2_b64 exec, exec, s[0:1]
	s_cbranch_execnz .LBB17_5
.LBB17_6:
	s_endpgm
	.section	.rodata,"a",@progbits
	.p2align	6, 0x0
	.amdhsa_kernel _ZN9rocsparseL17coomvt_aos_kernelILj1024Ei21rocsparse_complex_numIfES2_S2_S2_EEv20rocsparse_operation_lNS_24const_host_device_scalarIT4_EEPKT0_PKT1_PKT2_PT3_21rocsparse_index_base_b
		.amdhsa_group_segment_fixed_size 0
		.amdhsa_private_segment_fixed_size 0
		.amdhsa_kernarg_size 320
		.amdhsa_user_sgpr_count 6
		.amdhsa_user_sgpr_private_segment_buffer 1
		.amdhsa_user_sgpr_dispatch_ptr 0
		.amdhsa_user_sgpr_queue_ptr 0
		.amdhsa_user_sgpr_kernarg_segment_ptr 1
		.amdhsa_user_sgpr_dispatch_id 0
		.amdhsa_user_sgpr_flat_scratch_init 0
		.amdhsa_user_sgpr_private_segment_size 0
		.amdhsa_uses_dynamic_stack 0
		.amdhsa_system_sgpr_private_segment_wavefront_offset 0
		.amdhsa_system_sgpr_workgroup_id_x 1
		.amdhsa_system_sgpr_workgroup_id_y 0
		.amdhsa_system_sgpr_workgroup_id_z 0
		.amdhsa_system_sgpr_workgroup_info 0
		.amdhsa_system_vgpr_workitem_id 0
		.amdhsa_next_free_vgpr 13
		.amdhsa_next_free_sgpr 16
		.amdhsa_reserve_vcc 1
		.amdhsa_reserve_flat_scratch 0
		.amdhsa_float_round_mode_32 0
		.amdhsa_float_round_mode_16_64 0
		.amdhsa_float_denorm_mode_32 3
		.amdhsa_float_denorm_mode_16_64 3
		.amdhsa_dx10_clamp 1
		.amdhsa_ieee_mode 1
		.amdhsa_fp16_overflow 0
		.amdhsa_exception_fp_ieee_invalid_op 0
		.amdhsa_exception_fp_denorm_src 0
		.amdhsa_exception_fp_ieee_div_zero 0
		.amdhsa_exception_fp_ieee_overflow 0
		.amdhsa_exception_fp_ieee_underflow 0
		.amdhsa_exception_fp_ieee_inexact 0
		.amdhsa_exception_int_div_zero 0
	.end_amdhsa_kernel
	.section	.text._ZN9rocsparseL17coomvt_aos_kernelILj1024Ei21rocsparse_complex_numIfES2_S2_S2_EEv20rocsparse_operation_lNS_24const_host_device_scalarIT4_EEPKT0_PKT1_PKT2_PT3_21rocsparse_index_base_b,"axG",@progbits,_ZN9rocsparseL17coomvt_aos_kernelILj1024Ei21rocsparse_complex_numIfES2_S2_S2_EEv20rocsparse_operation_lNS_24const_host_device_scalarIT4_EEPKT0_PKT1_PKT2_PT3_21rocsparse_index_base_b,comdat
.Lfunc_end17:
	.size	_ZN9rocsparseL17coomvt_aos_kernelILj1024Ei21rocsparse_complex_numIfES2_S2_S2_EEv20rocsparse_operation_lNS_24const_host_device_scalarIT4_EEPKT0_PKT1_PKT2_PT3_21rocsparse_index_base_b, .Lfunc_end17-_ZN9rocsparseL17coomvt_aos_kernelILj1024Ei21rocsparse_complex_numIfES2_S2_S2_EEv20rocsparse_operation_lNS_24const_host_device_scalarIT4_EEPKT0_PKT1_PKT2_PT3_21rocsparse_index_base_b
                                        ; -- End function
	.set _ZN9rocsparseL17coomvt_aos_kernelILj1024Ei21rocsparse_complex_numIfES2_S2_S2_EEv20rocsparse_operation_lNS_24const_host_device_scalarIT4_EEPKT0_PKT1_PKT2_PT3_21rocsparse_index_base_b.num_vgpr, 13
	.set _ZN9rocsparseL17coomvt_aos_kernelILj1024Ei21rocsparse_complex_numIfES2_S2_S2_EEv20rocsparse_operation_lNS_24const_host_device_scalarIT4_EEPKT0_PKT1_PKT2_PT3_21rocsparse_index_base_b.num_agpr, 0
	.set _ZN9rocsparseL17coomvt_aos_kernelILj1024Ei21rocsparse_complex_numIfES2_S2_S2_EEv20rocsparse_operation_lNS_24const_host_device_scalarIT4_EEPKT0_PKT1_PKT2_PT3_21rocsparse_index_base_b.numbered_sgpr, 16
	.set _ZN9rocsparseL17coomvt_aos_kernelILj1024Ei21rocsparse_complex_numIfES2_S2_S2_EEv20rocsparse_operation_lNS_24const_host_device_scalarIT4_EEPKT0_PKT1_PKT2_PT3_21rocsparse_index_base_b.num_named_barrier, 0
	.set _ZN9rocsparseL17coomvt_aos_kernelILj1024Ei21rocsparse_complex_numIfES2_S2_S2_EEv20rocsparse_operation_lNS_24const_host_device_scalarIT4_EEPKT0_PKT1_PKT2_PT3_21rocsparse_index_base_b.private_seg_size, 0
	.set _ZN9rocsparseL17coomvt_aos_kernelILj1024Ei21rocsparse_complex_numIfES2_S2_S2_EEv20rocsparse_operation_lNS_24const_host_device_scalarIT4_EEPKT0_PKT1_PKT2_PT3_21rocsparse_index_base_b.uses_vcc, 1
	.set _ZN9rocsparseL17coomvt_aos_kernelILj1024Ei21rocsparse_complex_numIfES2_S2_S2_EEv20rocsparse_operation_lNS_24const_host_device_scalarIT4_EEPKT0_PKT1_PKT2_PT3_21rocsparse_index_base_b.uses_flat_scratch, 0
	.set _ZN9rocsparseL17coomvt_aos_kernelILj1024Ei21rocsparse_complex_numIfES2_S2_S2_EEv20rocsparse_operation_lNS_24const_host_device_scalarIT4_EEPKT0_PKT1_PKT2_PT3_21rocsparse_index_base_b.has_dyn_sized_stack, 0
	.set _ZN9rocsparseL17coomvt_aos_kernelILj1024Ei21rocsparse_complex_numIfES2_S2_S2_EEv20rocsparse_operation_lNS_24const_host_device_scalarIT4_EEPKT0_PKT1_PKT2_PT3_21rocsparse_index_base_b.has_recursion, 0
	.set _ZN9rocsparseL17coomvt_aos_kernelILj1024Ei21rocsparse_complex_numIfES2_S2_S2_EEv20rocsparse_operation_lNS_24const_host_device_scalarIT4_EEPKT0_PKT1_PKT2_PT3_21rocsparse_index_base_b.has_indirect_call, 0
	.section	.AMDGPU.csdata,"",@progbits
; Kernel info:
; codeLenInByte = 440
; TotalNumSgprs: 20
; NumVgprs: 13
; ScratchSize: 0
; MemoryBound: 0
; FloatMode: 240
; IeeeMode: 1
; LDSByteSize: 0 bytes/workgroup (compile time only)
; SGPRBlocks: 2
; VGPRBlocks: 3
; NumSGPRsForWavesPerEU: 20
; NumVGPRsForWavesPerEU: 13
; Occupancy: 10
; WaveLimiterHint : 1
; COMPUTE_PGM_RSRC2:SCRATCH_EN: 0
; COMPUTE_PGM_RSRC2:USER_SGPR: 6
; COMPUTE_PGM_RSRC2:TRAP_HANDLER: 0
; COMPUTE_PGM_RSRC2:TGID_X_EN: 1
; COMPUTE_PGM_RSRC2:TGID_Y_EN: 0
; COMPUTE_PGM_RSRC2:TGID_Z_EN: 0
; COMPUTE_PGM_RSRC2:TIDIG_COMP_CNT: 0
	.section	.text._ZN9rocsparseL26coomvn_aos_segmented_loopsILj256Ei21rocsparse_complex_numIfES2_S2_S2_EEvlT0_NS_24const_host_device_scalarIT4_EEPKS3_PKT1_PKT2_PT3_PS3_PS5_21rocsparse_index_base_b,"axG",@progbits,_ZN9rocsparseL26coomvn_aos_segmented_loopsILj256Ei21rocsparse_complex_numIfES2_S2_S2_EEvlT0_NS_24const_host_device_scalarIT4_EEPKS3_PKT1_PKT2_PT3_PS3_PS5_21rocsparse_index_base_b,comdat
	.globl	_ZN9rocsparseL26coomvn_aos_segmented_loopsILj256Ei21rocsparse_complex_numIfES2_S2_S2_EEvlT0_NS_24const_host_device_scalarIT4_EEPKS3_PKT1_PKT2_PT3_PS3_PS5_21rocsparse_index_base_b ; -- Begin function _ZN9rocsparseL26coomvn_aos_segmented_loopsILj256Ei21rocsparse_complex_numIfES2_S2_S2_EEvlT0_NS_24const_host_device_scalarIT4_EEPKS3_PKT1_PKT2_PT3_PS3_PS5_21rocsparse_index_base_b
	.p2align	8
	.type	_ZN9rocsparseL26coomvn_aos_segmented_loopsILj256Ei21rocsparse_complex_numIfES2_S2_S2_EEvlT0_NS_24const_host_device_scalarIT4_EEPKS3_PKT1_PKT2_PT3_PS3_PS5_21rocsparse_index_base_b,@function
_ZN9rocsparseL26coomvn_aos_segmented_loopsILj256Ei21rocsparse_complex_numIfES2_S2_S2_EEvlT0_NS_24const_host_device_scalarIT4_EEPKS3_PKT1_PKT2_PT3_PS3_PS5_21rocsparse_index_base_b: ; @_ZN9rocsparseL26coomvn_aos_segmented_loopsILj256Ei21rocsparse_complex_numIfES2_S2_S2_EEvlT0_NS_24const_host_device_scalarIT4_EEPKS3_PKT1_PKT2_PT3_PS3_PS5_21rocsparse_index_base_b
; %bb.0:
	s_load_dwordx2 s[34:35], s[4:5], 0x48
	s_load_dwordx2 s[0:1], s[4:5], 0x10
	s_add_u32 s2, s4, 16
	s_addc_u32 s3, s5, 0
	s_waitcnt lgkmcnt(0)
	s_bitcmp1_b32 s35, 0
	s_cselect_b32 s1, s3, s1
	s_cselect_b32 s0, s2, s0
	v_mov_b32_e32 v1, s0
	v_mov_b32_e32 v2, s1
	flat_load_dwordx2 v[1:2], v[1:2]
	s_waitcnt vmcnt(0) lgkmcnt(0)
	v_cmp_neq_f32_e32 vcc, 0, v1
	v_cmp_neq_f32_e64 s[0:1], 0, v2
	s_or_b64 s[0:1], vcc, s[0:1]
	s_and_saveexec_b64 s[2:3], s[0:1]
	s_cbranch_execz .LBB18_87
; %bb.1:
	s_load_dword s42, s[4:5], 0x8
	s_load_dwordx2 s[36:37], s[4:5], 0x0
	s_load_dwordx4 s[28:31], s[4:5], 0x18
	s_load_dwordx2 s[40:41], s[4:5], 0x28
	v_mov_b32_e32 v12, 0
	s_waitcnt lgkmcnt(0)
	s_mul_i32 s0, s6, s42
	v_lshl_or_b32 v11, s0, 8, v0
	v_cmp_gt_i64_e32 vcc, s[36:37], v[11:12]
	v_lshlrev_b64 v[7:8], 3, v[11:12]
	v_mov_b32_e32 v3, -1
	v_mov_b32_e32 v5, v12
	v_mov_b32_e32 v6, v12
	s_and_saveexec_b64 s[0:1], vcc
	s_cbranch_execz .LBB18_3
; %bb.2:
	v_mov_b32_e32 v4, s29
	v_add_co_u32_e32 v3, vcc, s28, v7
	v_addc_co_u32_e32 v4, vcc, v4, v8, vcc
	global_load_dwordx2 v[3:4], v[3:4], off glc slc
	v_mov_b32_e32 v6, s31
	v_add_co_u32_e32 v5, vcc, s30, v7
	v_addc_co_u32_e32 v6, vcc, v6, v8, vcc
	global_load_dwordx2 v[9:10], v[5:6], off glc slc
	v_mov_b32_e32 v12, s41
	s_ashr_i32 s35, s34, 31
	s_lshl_b64 s[2:3], s[34:35], 3
	v_mov_b32_e32 v6, s3
	s_waitcnt vmcnt(1)
	v_ashrrev_i32_e32 v5, 31, v4
	v_lshlrev_b64 v[4:5], 3, v[4:5]
	v_subrev_u32_e32 v3, s34, v3
	v_add_co_u32_e32 v4, vcc, s40, v4
	v_addc_co_u32_e32 v5, vcc, v12, v5, vcc
	v_subrev_co_u32_e32 v4, vcc, s2, v4
	v_subb_co_u32_e32 v5, vcc, v5, v6, vcc
	global_load_dwordx2 v[12:13], v[4:5], off
	s_waitcnt vmcnt(0)
	v_mul_f32_e64 v5, v13, -v10
	v_mul_f32_e32 v6, v9, v13
	v_fmac_f32_e32 v5, v9, v12
	v_fmac_f32_e32 v6, v10, v12
.LBB18_3:
	s_or_b64 exec, exec, s[0:1]
	v_lshlrev_b32_e32 v4, 2, v0
	v_or_b32_e32 v13, 0x800, v4
	v_lshlrev_b32_e32 v14, 3, v0
	v_cmp_eq_u32_e64 s[0:1], 0, v0
	v_cmp_ne_u32_e64 s[2:3], 0, v0
	v_add_u32_e32 v15, -4, v13
	ds_write_b32 v4, v3 offset:2048
	ds_write_b64 v14, v[5:6]
	s_waitcnt lgkmcnt(0)
	s_barrier
	s_and_saveexec_b64 s[8:9], s[2:3]
	s_cbranch_execz .LBB18_7
; %bb.4:
	ds_read_b32 v4, v15
	s_waitcnt lgkmcnt(0)
	v_cmp_eq_u32_e32 vcc, v3, v4
	s_and_saveexec_b64 s[10:11], vcc
	s_cbranch_execz .LBB18_6
; %bb.5:
	v_add_u32_e32 v4, -8, v14
	ds_read_b64 v[9:10], v4
	s_waitcnt lgkmcnt(0)
	v_add_f32_e32 v5, v5, v9
	v_add_f32_e32 v6, v6, v10
.LBB18_6:
	s_or_b64 exec, exec, s[10:11]
.LBB18_7:
	s_or_b64 exec, exec, s[8:9]
	v_cmp_lt_u32_e64 s[22:23], 1, v0
	v_add_u32_e32 v16, -8, v13
	s_barrier
	ds_write_b64 v14, v[5:6]
	s_waitcnt lgkmcnt(0)
	s_barrier
	s_and_saveexec_b64 s[8:9], s[22:23]
	s_cbranch_execz .LBB18_11
; %bb.8:
	ds_read_b32 v4, v16
	s_waitcnt lgkmcnt(0)
	v_cmp_eq_u32_e32 vcc, v3, v4
	s_and_saveexec_b64 s[10:11], vcc
	s_cbranch_execz .LBB18_10
; %bb.9:
	v_add_u32_e32 v4, -16, v14
	ds_read_b64 v[9:10], v4
	s_waitcnt lgkmcnt(0)
	v_add_f32_e32 v5, v5, v9
	v_add_f32_e32 v6, v6, v10
.LBB18_10:
	s_or_b64 exec, exec, s[10:11]
.LBB18_11:
	s_or_b64 exec, exec, s[8:9]
	v_cmp_lt_u32_e64 s[8:9], 3, v0
	v_add_u32_e32 v17, -16, v13
	s_barrier
	ds_write_b64 v14, v[5:6]
	s_waitcnt lgkmcnt(0)
	s_barrier
	s_and_saveexec_b64 s[10:11], s[8:9]
	s_cbranch_execz .LBB18_15
; %bb.12:
	ds_read_b32 v4, v17
	s_waitcnt lgkmcnt(0)
	v_cmp_eq_u32_e32 vcc, v3, v4
	s_and_saveexec_b64 s[12:13], vcc
	s_cbranch_execz .LBB18_14
; %bb.13:
	v_subrev_u32_e32 v4, 32, v14
	ds_read_b64 v[9:10], v4
	s_waitcnt lgkmcnt(0)
	v_add_f32_e32 v5, v5, v9
	v_add_f32_e32 v6, v6, v10
.LBB18_14:
	s_or_b64 exec, exec, s[12:13]
.LBB18_15:
	s_or_b64 exec, exec, s[10:11]
	v_cmp_lt_u32_e64 s[10:11], 7, v0
	v_subrev_u32_e32 v18, 32, v13
	s_barrier
	ds_write_b64 v14, v[5:6]
	s_waitcnt lgkmcnt(0)
	s_barrier
	s_and_saveexec_b64 s[12:13], s[10:11]
	s_cbranch_execz .LBB18_19
; %bb.16:
	ds_read_b32 v4, v18
	s_waitcnt lgkmcnt(0)
	v_cmp_eq_u32_e32 vcc, v3, v4
	s_and_saveexec_b64 s[14:15], vcc
	s_cbranch_execz .LBB18_18
; %bb.17:
	v_subrev_u32_e32 v4, 64, v14
	ds_read_b64 v[9:10], v4
	s_waitcnt lgkmcnt(0)
	v_add_f32_e32 v5, v5, v9
	v_add_f32_e32 v6, v6, v10
.LBB18_18:
	s_or_b64 exec, exec, s[14:15]
.LBB18_19:
	s_or_b64 exec, exec, s[12:13]
	v_cmp_lt_u32_e64 s[12:13], 15, v0
	v_subrev_u32_e32 v19, 64, v13
	s_barrier
	ds_write_b64 v14, v[5:6]
	s_waitcnt lgkmcnt(0)
	s_barrier
	s_and_saveexec_b64 s[14:15], s[12:13]
	s_cbranch_execz .LBB18_23
; %bb.20:
	ds_read_b32 v4, v19
	s_waitcnt lgkmcnt(0)
	v_cmp_eq_u32_e32 vcc, v3, v4
	s_and_saveexec_b64 s[16:17], vcc
	s_cbranch_execz .LBB18_22
; %bb.21:
	v_add_u32_e32 v4, 0xffffff80, v14
	ds_read_b64 v[9:10], v4
	s_waitcnt lgkmcnt(0)
	v_add_f32_e32 v5, v5, v9
	v_add_f32_e32 v6, v6, v10
.LBB18_22:
	s_or_b64 exec, exec, s[16:17]
.LBB18_23:
	s_or_b64 exec, exec, s[14:15]
	v_cmp_lt_u32_e64 s[14:15], 31, v0
	s_barrier
	ds_write_b64 v14, v[5:6]
	s_waitcnt lgkmcnt(0)
	s_barrier
	s_and_saveexec_b64 s[16:17], s[14:15]
	s_cbranch_execz .LBB18_27
; %bb.24:
	v_add_u32_e32 v4, 0xffffff80, v13
	ds_read_b32 v4, v4
	s_waitcnt lgkmcnt(0)
	v_cmp_eq_u32_e32 vcc, v3, v4
	s_and_saveexec_b64 s[18:19], vcc
	s_cbranch_execz .LBB18_26
; %bb.25:
	v_add_u32_e32 v4, 0xffffff00, v14
	ds_read_b64 v[9:10], v4
	s_waitcnt lgkmcnt(0)
	v_add_f32_e32 v5, v5, v9
	v_add_f32_e32 v6, v6, v10
.LBB18_26:
	s_or_b64 exec, exec, s[18:19]
.LBB18_27:
	s_or_b64 exec, exec, s[16:17]
	v_cmp_lt_u32_e64 s[16:17], 63, v0
	s_barrier
	ds_write_b64 v14, v[5:6]
	s_waitcnt lgkmcnt(0)
	s_barrier
	s_and_saveexec_b64 s[18:19], s[16:17]
	s_cbranch_execz .LBB18_31
; %bb.28:
	v_add_u32_e32 v4, 0xffffff00, v13
	ds_read_b32 v4, v4
	s_waitcnt lgkmcnt(0)
	v_cmp_eq_u32_e32 vcc, v3, v4
	s_and_saveexec_b64 s[20:21], vcc
	s_cbranch_execz .LBB18_30
; %bb.29:
	v_add_u32_e32 v4, 0xfffffe00, v14
	ds_read_b64 v[9:10], v4
	s_waitcnt lgkmcnt(0)
	v_add_f32_e32 v5, v5, v9
	v_add_f32_e32 v6, v6, v10
.LBB18_30:
	s_or_b64 exec, exec, s[20:21]
.LBB18_31:
	s_or_b64 exec, exec, s[18:19]
	s_load_dwordx2 s[38:39], s[4:5], 0x30
	s_movk_i32 s7, 0x7f
	v_cmp_lt_u32_e64 s[18:19], s7, v0
	s_waitcnt lgkmcnt(0)
	s_barrier
	ds_write_b64 v14, v[5:6]
	s_waitcnt lgkmcnt(0)
	s_barrier
	s_and_saveexec_b64 s[20:21], s[18:19]
	s_cbranch_execz .LBB18_35
; %bb.32:
	v_add_u32_e32 v4, 0xfffffe00, v13
	ds_read_b32 v4, v4
	s_waitcnt lgkmcnt(0)
	v_cmp_eq_u32_e32 vcc, v3, v4
	s_and_saveexec_b64 s[24:25], vcc
	s_cbranch_execz .LBB18_34
; %bb.33:
	v_add_u32_e32 v4, 0xfffffc00, v14
	ds_read_b64 v[9:10], v4
	s_waitcnt lgkmcnt(0)
	v_add_f32_e32 v5, v5, v9
	v_add_f32_e32 v6, v6, v10
.LBB18_34:
	s_or_b64 exec, exec, s[24:25]
.LBB18_35:
	s_or_b64 exec, exec, s[20:21]
	s_movk_i32 s7, 0xff
	v_cmp_gt_u32_e64 s[20:21], s7, v0
	s_barrier
	ds_write_b64 v14, v[5:6]
	s_waitcnt lgkmcnt(0)
	s_barrier
	s_and_saveexec_b64 s[26:27], s[20:21]
	s_cbranch_execz .LBB18_38
; %bb.36:
	ds_read_b32 v4, v13 offset:4
	v_cmp_lt_i32_e64 s[24:25], -1, v3
	s_waitcnt lgkmcnt(0)
	v_cmp_ne_u32_e32 vcc, v3, v4
	s_and_b64 s[24:25], s[24:25], vcc
	s_and_b64 exec, exec, s[24:25]
	s_cbranch_execz .LBB18_38
; %bb.37:
	v_mov_b32_e32 v4, 0
	v_lshlrev_b64 v[9:10], 3, v[3:4]
	v_mov_b32_e32 v4, s39
	v_add_co_u32_e32 v9, vcc, s38, v9
	v_addc_co_u32_e32 v10, vcc, v4, v10, vcc
	global_load_dwordx2 v[20:21], v[9:10], off
	s_waitcnt vmcnt(0)
	v_fma_f32 v4, v1, v5, v20
	v_fmac_f32_e32 v21, v2, v5
	v_fma_f32 v20, -v2, v6, v4
	v_fmac_f32_e32 v21, v1, v6
	global_store_dwordx2 v[9:10], v[20:21], off
.LBB18_38:
	s_or_b64 exec, exec, s[26:27]
	s_load_dwordx4 s[24:27], s[4:5], 0x38
	s_cmp_lt_i32 s42, 2
	s_cbranch_scc1 .LBB18_85
; %bb.39:
	s_ashr_i32 s35, s34, 31
	s_lshl_b64 s[4:5], s[34:35], 3
	s_sub_u32 s7, s40, s4
	s_movk_i32 s4, 0x800
	v_add_co_u32_e32 v3, vcc, s4, v7
	v_addc_co_u32_e32 v4, vcc, 0, v8, vcc
	v_mov_b32_e32 v5, s31
	v_add_co_u32_e32 v7, vcc, s30, v3
	v_addc_co_u32_e32 v8, vcc, v5, v4, vcc
	v_mov_b32_e32 v5, s29
	v_add_co_u32_e32 v9, vcc, s28, v3
	v_addc_co_u32_e32 v10, vcc, v5, v4, vcc
	s_movk_i32 s4, 0x100
	v_add_co_u32_e32 v11, vcc, s4, v11
	s_subb_u32 s33, s41, s5
	v_add_u32_e32 v20, 0xffffff80, v14
	v_add_u32_e32 v21, 0xffffff80, v13
	v_add_u32_e32 v22, 0xffffff00, v14
	v_add_u32_e32 v23, 0xffffff00, v13
	v_add_u32_e32 v24, 0xfffffe00, v14
	v_add_u32_e32 v25, 0xfffffe00, v13
	v_add_u32_e32 v26, 0xfffffc00, v14
	v_addc_co_u32_e64 v12, s[4:5], 0, 0, vcc
	s_add_i32 s35, s42, -1
	s_mov_b32 s29, 0
	v_mov_b32_e32 v4, 0
	s_branch .LBB18_41
.LBB18_40:                              ;   in Loop: Header=BB18_41 Depth=1
	s_or_b64 exec, exec, s[30:31]
	v_add_co_u32_e32 v7, vcc, 0x800, v7
	v_addc_co_u32_e32 v8, vcc, 0, v8, vcc
	v_add_co_u32_e32 v9, vcc, 0x800, v9
	v_addc_co_u32_e32 v10, vcc, 0, v10, vcc
	v_add_co_u32_e32 v11, vcc, 0x100, v11
	s_add_i32 s35, s35, -1
	s_cmp_eq_u32 s35, 0
	v_addc_co_u32_e32 v12, vcc, 0, v12, vcc
	s_cbranch_scc1 .LBB18_85
.LBB18_41:                              ; =>This Inner Loop Header: Depth=1
	v_cmp_gt_i64_e32 vcc, s[36:37], v[11:12]
	v_mov_b32_e32 v3, -1
	v_mov_b32_e32 v5, 0
	v_mov_b32_e32 v6, 0
	s_and_saveexec_b64 s[4:5], vcc
	s_cbranch_execz .LBB18_43
; %bb.42:                               ;   in Loop: Header=BB18_41 Depth=1
	global_load_dwordx2 v[5:6], v[9:10], off glc slc
	global_load_dwordx2 v[27:28], v[7:8], off glc slc
	v_mov_b32_e32 v3, s33
	s_waitcnt vmcnt(1)
	v_ashrrev_i32_e32 v30, 31, v6
	v_mov_b32_e32 v29, v6
	v_lshlrev_b64 v[29:30], 3, v[29:30]
	v_add_co_u32_e32 v29, vcc, s7, v29
	v_addc_co_u32_e32 v30, vcc, v3, v30, vcc
	global_load_dwordx2 v[29:30], v[29:30], off
	v_subrev_u32_e32 v3, s34, v5
	s_waitcnt vmcnt(0)
	v_mul_f32_e64 v5, v30, -v28
	v_mul_f32_e32 v6, v27, v30
	v_fmac_f32_e32 v5, v27, v29
	v_fmac_f32_e32 v6, v28, v29
.LBB18_43:                              ;   in Loop: Header=BB18_41 Depth=1
	s_or_b64 exec, exec, s[4:5]
	s_and_saveexec_b64 s[4:5], s[0:1]
	s_cbranch_execz .LBB18_50
; %bb.44:                               ;   in Loop: Header=BB18_41 Depth=1
	ds_read_b32 v27, v4 offset:3068
	s_waitcnt lgkmcnt(0)
	v_readfirstlane_b32 s28, v27
	v_cmp_ne_u32_e32 vcc, v3, v27
	s_and_saveexec_b64 s[30:31], vcc
	s_xor_b64 s[30:31], exec, s[30:31]
	s_cbranch_execz .LBB18_47
; %bb.45:                               ;   in Loop: Header=BB18_41 Depth=1
	s_cmp_lt_i32 s28, 0
	s_cbranch_scc1 .LBB18_47
; %bb.46:                               ;   in Loop: Header=BB18_41 Depth=1
	s_lshl_b64 s[40:41], s[28:29], 3
	s_add_u32 s40, s38, s40
	s_addc_u32 s41, s39, s41
	global_load_dwordx2 v[27:28], v4, s[40:41]
	ds_read_b64 v[29:30], v4 offset:2040
	s_waitcnt vmcnt(0) lgkmcnt(0)
	v_fma_f32 v27, v1, v29, v27
	v_fmac_f32_e32 v28, v2, v29
	v_fma_f32 v27, -v2, v30, v27
	v_fmac_f32_e32 v28, v1, v30
	global_store_dwordx2 v4, v[27:28], s[40:41]
.LBB18_47:                              ;   in Loop: Header=BB18_41 Depth=1
	s_andn2_saveexec_b64 s[30:31], s[30:31]
	s_cbranch_execz .LBB18_49
; %bb.48:                               ;   in Loop: Header=BB18_41 Depth=1
	ds_read_b64 v[27:28], v4 offset:2040
	s_waitcnt lgkmcnt(0)
	v_add_f32_e32 v5, v5, v27
	v_add_f32_e32 v6, v6, v28
.LBB18_49:                              ;   in Loop: Header=BB18_41 Depth=1
	s_or_b64 exec, exec, s[30:31]
.LBB18_50:                              ;   in Loop: Header=BB18_41 Depth=1
	s_or_b64 exec, exec, s[4:5]
	s_waitcnt vmcnt(0) lgkmcnt(0)
	s_barrier
	ds_write_b32 v13, v3
	ds_write_b64 v14, v[5:6]
	s_waitcnt lgkmcnt(0)
	s_barrier
	s_and_saveexec_b64 s[4:5], s[2:3]
	s_cbranch_execz .LBB18_54
; %bb.51:                               ;   in Loop: Header=BB18_41 Depth=1
	ds_read_b32 v27, v15
	s_waitcnt lgkmcnt(0)
	v_cmp_eq_u32_e32 vcc, v3, v27
	s_and_saveexec_b64 s[30:31], vcc
	s_cbranch_execz .LBB18_53
; %bb.52:                               ;   in Loop: Header=BB18_41 Depth=1
	v_add_u32_e32 v27, -8, v14
	ds_read_b64 v[27:28], v27
	s_waitcnt lgkmcnt(0)
	v_add_f32_e32 v5, v5, v27
	v_add_f32_e32 v6, v6, v28
.LBB18_53:                              ;   in Loop: Header=BB18_41 Depth=1
	s_or_b64 exec, exec, s[30:31]
.LBB18_54:                              ;   in Loop: Header=BB18_41 Depth=1
	s_or_b64 exec, exec, s[4:5]
	s_barrier
	ds_write_b64 v14, v[5:6]
	s_waitcnt lgkmcnt(0)
	s_barrier
	s_and_saveexec_b64 s[4:5], s[22:23]
	s_cbranch_execz .LBB18_58
; %bb.55:                               ;   in Loop: Header=BB18_41 Depth=1
	ds_read_b32 v27, v16
	s_waitcnt lgkmcnt(0)
	v_cmp_eq_u32_e32 vcc, v3, v27
	s_and_saveexec_b64 s[30:31], vcc
	s_cbranch_execz .LBB18_57
; %bb.56:                               ;   in Loop: Header=BB18_41 Depth=1
	v_add_u32_e32 v27, -16, v14
	ds_read_b64 v[27:28], v27
	s_waitcnt lgkmcnt(0)
	v_add_f32_e32 v5, v5, v27
	v_add_f32_e32 v6, v6, v28
.LBB18_57:                              ;   in Loop: Header=BB18_41 Depth=1
	s_or_b64 exec, exec, s[30:31]
.LBB18_58:                              ;   in Loop: Header=BB18_41 Depth=1
	s_or_b64 exec, exec, s[4:5]
	s_barrier
	ds_write_b64 v14, v[5:6]
	s_waitcnt lgkmcnt(0)
	s_barrier
	s_and_saveexec_b64 s[4:5], s[8:9]
	s_cbranch_execz .LBB18_62
; %bb.59:                               ;   in Loop: Header=BB18_41 Depth=1
	ds_read_b32 v27, v17
	s_waitcnt lgkmcnt(0)
	v_cmp_eq_u32_e32 vcc, v3, v27
	s_and_saveexec_b64 s[30:31], vcc
	s_cbranch_execz .LBB18_61
; %bb.60:                               ;   in Loop: Header=BB18_41 Depth=1
	v_subrev_u32_e32 v27, 32, v14
	ds_read_b64 v[27:28], v27
	s_waitcnt lgkmcnt(0)
	v_add_f32_e32 v5, v5, v27
	v_add_f32_e32 v6, v6, v28
.LBB18_61:                              ;   in Loop: Header=BB18_41 Depth=1
	s_or_b64 exec, exec, s[30:31]
.LBB18_62:                              ;   in Loop: Header=BB18_41 Depth=1
	s_or_b64 exec, exec, s[4:5]
	s_barrier
	ds_write_b64 v14, v[5:6]
	s_waitcnt lgkmcnt(0)
	s_barrier
	s_and_saveexec_b64 s[4:5], s[10:11]
	s_cbranch_execz .LBB18_66
; %bb.63:                               ;   in Loop: Header=BB18_41 Depth=1
	ds_read_b32 v27, v18
	s_waitcnt lgkmcnt(0)
	v_cmp_eq_u32_e32 vcc, v3, v27
	s_and_saveexec_b64 s[30:31], vcc
	s_cbranch_execz .LBB18_65
; %bb.64:                               ;   in Loop: Header=BB18_41 Depth=1
	v_subrev_u32_e32 v27, 64, v14
	ds_read_b64 v[27:28], v27
	s_waitcnt lgkmcnt(0)
	v_add_f32_e32 v5, v5, v27
	v_add_f32_e32 v6, v6, v28
.LBB18_65:                              ;   in Loop: Header=BB18_41 Depth=1
	s_or_b64 exec, exec, s[30:31]
.LBB18_66:                              ;   in Loop: Header=BB18_41 Depth=1
	s_or_b64 exec, exec, s[4:5]
	s_barrier
	ds_write_b64 v14, v[5:6]
	s_waitcnt lgkmcnt(0)
	s_barrier
	s_and_saveexec_b64 s[4:5], s[12:13]
	s_cbranch_execz .LBB18_70
; %bb.67:                               ;   in Loop: Header=BB18_41 Depth=1
	ds_read_b32 v27, v19
	s_waitcnt lgkmcnt(0)
	v_cmp_eq_u32_e32 vcc, v3, v27
	s_and_saveexec_b64 s[30:31], vcc
	s_cbranch_execz .LBB18_69
; %bb.68:                               ;   in Loop: Header=BB18_41 Depth=1
	ds_read_b64 v[27:28], v20
	s_waitcnt lgkmcnt(0)
	v_add_f32_e32 v5, v5, v27
	v_add_f32_e32 v6, v6, v28
.LBB18_69:                              ;   in Loop: Header=BB18_41 Depth=1
	s_or_b64 exec, exec, s[30:31]
.LBB18_70:                              ;   in Loop: Header=BB18_41 Depth=1
	s_or_b64 exec, exec, s[4:5]
	s_barrier
	ds_write_b64 v14, v[5:6]
	s_waitcnt lgkmcnt(0)
	s_barrier
	s_and_saveexec_b64 s[4:5], s[14:15]
	s_cbranch_execz .LBB18_74
; %bb.71:                               ;   in Loop: Header=BB18_41 Depth=1
	ds_read_b32 v27, v21
	s_waitcnt lgkmcnt(0)
	v_cmp_eq_u32_e32 vcc, v3, v27
	s_and_saveexec_b64 s[30:31], vcc
	s_cbranch_execz .LBB18_73
; %bb.72:                               ;   in Loop: Header=BB18_41 Depth=1
	ds_read_b64 v[27:28], v22
	s_waitcnt lgkmcnt(0)
	v_add_f32_e32 v5, v5, v27
	v_add_f32_e32 v6, v6, v28
.LBB18_73:                              ;   in Loop: Header=BB18_41 Depth=1
	s_or_b64 exec, exec, s[30:31]
.LBB18_74:                              ;   in Loop: Header=BB18_41 Depth=1
	s_or_b64 exec, exec, s[4:5]
	s_barrier
	ds_write_b64 v14, v[5:6]
	s_waitcnt lgkmcnt(0)
	s_barrier
	s_and_saveexec_b64 s[4:5], s[16:17]
	s_cbranch_execz .LBB18_78
; %bb.75:                               ;   in Loop: Header=BB18_41 Depth=1
	ds_read_b32 v27, v23
	s_waitcnt lgkmcnt(0)
	v_cmp_eq_u32_e32 vcc, v3, v27
	s_and_saveexec_b64 s[30:31], vcc
	s_cbranch_execz .LBB18_77
; %bb.76:                               ;   in Loop: Header=BB18_41 Depth=1
	ds_read_b64 v[27:28], v24
	s_waitcnt lgkmcnt(0)
	v_add_f32_e32 v5, v5, v27
	v_add_f32_e32 v6, v6, v28
.LBB18_77:                              ;   in Loop: Header=BB18_41 Depth=1
	s_or_b64 exec, exec, s[30:31]
.LBB18_78:                              ;   in Loop: Header=BB18_41 Depth=1
	s_or_b64 exec, exec, s[4:5]
	s_barrier
	ds_write_b64 v14, v[5:6]
	s_waitcnt lgkmcnt(0)
	s_barrier
	s_and_saveexec_b64 s[4:5], s[18:19]
	s_cbranch_execz .LBB18_82
; %bb.79:                               ;   in Loop: Header=BB18_41 Depth=1
	ds_read_b32 v27, v25
	s_waitcnt lgkmcnt(0)
	v_cmp_eq_u32_e32 vcc, v3, v27
	s_and_saveexec_b64 s[30:31], vcc
	s_cbranch_execz .LBB18_81
; %bb.80:                               ;   in Loop: Header=BB18_41 Depth=1
	ds_read_b64 v[27:28], v26
	s_waitcnt lgkmcnt(0)
	v_add_f32_e32 v5, v5, v27
	v_add_f32_e32 v6, v6, v28
.LBB18_81:                              ;   in Loop: Header=BB18_41 Depth=1
	s_or_b64 exec, exec, s[30:31]
.LBB18_82:                              ;   in Loop: Header=BB18_41 Depth=1
	s_or_b64 exec, exec, s[4:5]
	s_barrier
	ds_write_b64 v14, v[5:6]
	s_waitcnt lgkmcnt(0)
	s_barrier
	s_and_saveexec_b64 s[30:31], s[20:21]
	s_cbranch_execz .LBB18_40
; %bb.83:                               ;   in Loop: Header=BB18_41 Depth=1
	ds_read_b32 v27, v13 offset:4
	v_cmp_lt_i32_e64 s[4:5], -1, v3
	s_waitcnt lgkmcnt(0)
	v_cmp_ne_u32_e32 vcc, v3, v27
	s_and_b64 s[4:5], s[4:5], vcc
	s_and_b64 exec, exec, s[4:5]
	s_cbranch_execz .LBB18_40
; %bb.84:                               ;   in Loop: Header=BB18_41 Depth=1
	v_lshlrev_b64 v[27:28], 3, v[3:4]
	v_mov_b32_e32 v29, s39
	v_add_co_u32_e32 v27, vcc, s38, v27
	v_addc_co_u32_e32 v28, vcc, v29, v28, vcc
	global_load_dwordx2 v[29:30], v[27:28], off
	s_waitcnt vmcnt(0)
	v_fma_f32 v29, v1, v5, v29
	v_fmac_f32_e32 v30, v2, v5
	v_fma_f32 v29, -v2, v6, v29
	v_fmac_f32_e32 v30, v1, v6
	global_store_dwordx2 v[27:28], v[29:30], off
	s_branch .LBB18_40
.LBB18_85:
	s_movk_i32 s0, 0xff
	v_cmp_eq_u32_e32 vcc, s0, v0
	s_and_b64 exec, exec, vcc
	s_cbranch_execz .LBB18_87
; %bb.86:
	s_mov_b32 s7, 0
	s_lshl_b64 s[0:1], s[6:7], 3
	s_waitcnt lgkmcnt(0)
	s_add_u32 s0, s26, s0
	s_addc_u32 s1, s27, s1
	s_lshl_b64 s[2:3], s[6:7], 2
	s_add_u32 s2, s24, s2
	v_mov_b32_e32 v0, 0
	v_mul_f32_e32 v7, v1, v6
	v_mul_f32_e64 v6, v6, -v2
	s_addc_u32 s3, s25, s3
	v_fmac_f32_e32 v7, v2, v5
	v_fmac_f32_e32 v6, v1, v5
	global_store_dword v0, v3, s[2:3] glc slc
	global_store_dwordx2 v0, v[6:7], s[0:1] glc slc
.LBB18_87:
	s_endpgm
	.section	.rodata,"a",@progbits
	.p2align	6, 0x0
	.amdhsa_kernel _ZN9rocsparseL26coomvn_aos_segmented_loopsILj256Ei21rocsparse_complex_numIfES2_S2_S2_EEvlT0_NS_24const_host_device_scalarIT4_EEPKS3_PKT1_PKT2_PT3_PS3_PS5_21rocsparse_index_base_b
		.amdhsa_group_segment_fixed_size 3072
		.amdhsa_private_segment_fixed_size 0
		.amdhsa_kernarg_size 80
		.amdhsa_user_sgpr_count 6
		.amdhsa_user_sgpr_private_segment_buffer 1
		.amdhsa_user_sgpr_dispatch_ptr 0
		.amdhsa_user_sgpr_queue_ptr 0
		.amdhsa_user_sgpr_kernarg_segment_ptr 1
		.amdhsa_user_sgpr_dispatch_id 0
		.amdhsa_user_sgpr_flat_scratch_init 0
		.amdhsa_user_sgpr_private_segment_size 0
		.amdhsa_uses_dynamic_stack 0
		.amdhsa_system_sgpr_private_segment_wavefront_offset 0
		.amdhsa_system_sgpr_workgroup_id_x 1
		.amdhsa_system_sgpr_workgroup_id_y 0
		.amdhsa_system_sgpr_workgroup_id_z 0
		.amdhsa_system_sgpr_workgroup_info 0
		.amdhsa_system_vgpr_workitem_id 0
		.amdhsa_next_free_vgpr 31
		.amdhsa_next_free_sgpr 43
		.amdhsa_reserve_vcc 1
		.amdhsa_reserve_flat_scratch 0
		.amdhsa_float_round_mode_32 0
		.amdhsa_float_round_mode_16_64 0
		.amdhsa_float_denorm_mode_32 3
		.amdhsa_float_denorm_mode_16_64 3
		.amdhsa_dx10_clamp 1
		.amdhsa_ieee_mode 1
		.amdhsa_fp16_overflow 0
		.amdhsa_exception_fp_ieee_invalid_op 0
		.amdhsa_exception_fp_denorm_src 0
		.amdhsa_exception_fp_ieee_div_zero 0
		.amdhsa_exception_fp_ieee_overflow 0
		.amdhsa_exception_fp_ieee_underflow 0
		.amdhsa_exception_fp_ieee_inexact 0
		.amdhsa_exception_int_div_zero 0
	.end_amdhsa_kernel
	.section	.text._ZN9rocsparseL26coomvn_aos_segmented_loopsILj256Ei21rocsparse_complex_numIfES2_S2_S2_EEvlT0_NS_24const_host_device_scalarIT4_EEPKS3_PKT1_PKT2_PT3_PS3_PS5_21rocsparse_index_base_b,"axG",@progbits,_ZN9rocsparseL26coomvn_aos_segmented_loopsILj256Ei21rocsparse_complex_numIfES2_S2_S2_EEvlT0_NS_24const_host_device_scalarIT4_EEPKS3_PKT1_PKT2_PT3_PS3_PS5_21rocsparse_index_base_b,comdat
.Lfunc_end18:
	.size	_ZN9rocsparseL26coomvn_aos_segmented_loopsILj256Ei21rocsparse_complex_numIfES2_S2_S2_EEvlT0_NS_24const_host_device_scalarIT4_EEPKS3_PKT1_PKT2_PT3_PS3_PS5_21rocsparse_index_base_b, .Lfunc_end18-_ZN9rocsparseL26coomvn_aos_segmented_loopsILj256Ei21rocsparse_complex_numIfES2_S2_S2_EEvlT0_NS_24const_host_device_scalarIT4_EEPKS3_PKT1_PKT2_PT3_PS3_PS5_21rocsparse_index_base_b
                                        ; -- End function
	.set _ZN9rocsparseL26coomvn_aos_segmented_loopsILj256Ei21rocsparse_complex_numIfES2_S2_S2_EEvlT0_NS_24const_host_device_scalarIT4_EEPKS3_PKT1_PKT2_PT3_PS3_PS5_21rocsparse_index_base_b.num_vgpr, 31
	.set _ZN9rocsparseL26coomvn_aos_segmented_loopsILj256Ei21rocsparse_complex_numIfES2_S2_S2_EEvlT0_NS_24const_host_device_scalarIT4_EEPKS3_PKT1_PKT2_PT3_PS3_PS5_21rocsparse_index_base_b.num_agpr, 0
	.set _ZN9rocsparseL26coomvn_aos_segmented_loopsILj256Ei21rocsparse_complex_numIfES2_S2_S2_EEvlT0_NS_24const_host_device_scalarIT4_EEPKS3_PKT1_PKT2_PT3_PS3_PS5_21rocsparse_index_base_b.numbered_sgpr, 43
	.set _ZN9rocsparseL26coomvn_aos_segmented_loopsILj256Ei21rocsparse_complex_numIfES2_S2_S2_EEvlT0_NS_24const_host_device_scalarIT4_EEPKS3_PKT1_PKT2_PT3_PS3_PS5_21rocsparse_index_base_b.num_named_barrier, 0
	.set _ZN9rocsparseL26coomvn_aos_segmented_loopsILj256Ei21rocsparse_complex_numIfES2_S2_S2_EEvlT0_NS_24const_host_device_scalarIT4_EEPKS3_PKT1_PKT2_PT3_PS3_PS5_21rocsparse_index_base_b.private_seg_size, 0
	.set _ZN9rocsparseL26coomvn_aos_segmented_loopsILj256Ei21rocsparse_complex_numIfES2_S2_S2_EEvlT0_NS_24const_host_device_scalarIT4_EEPKS3_PKT1_PKT2_PT3_PS3_PS5_21rocsparse_index_base_b.uses_vcc, 1
	.set _ZN9rocsparseL26coomvn_aos_segmented_loopsILj256Ei21rocsparse_complex_numIfES2_S2_S2_EEvlT0_NS_24const_host_device_scalarIT4_EEPKS3_PKT1_PKT2_PT3_PS3_PS5_21rocsparse_index_base_b.uses_flat_scratch, 0
	.set _ZN9rocsparseL26coomvn_aos_segmented_loopsILj256Ei21rocsparse_complex_numIfES2_S2_S2_EEvlT0_NS_24const_host_device_scalarIT4_EEPKS3_PKT1_PKT2_PT3_PS3_PS5_21rocsparse_index_base_b.has_dyn_sized_stack, 0
	.set _ZN9rocsparseL26coomvn_aos_segmented_loopsILj256Ei21rocsparse_complex_numIfES2_S2_S2_EEvlT0_NS_24const_host_device_scalarIT4_EEPKS3_PKT1_PKT2_PT3_PS3_PS5_21rocsparse_index_base_b.has_recursion, 0
	.set _ZN9rocsparseL26coomvn_aos_segmented_loopsILj256Ei21rocsparse_complex_numIfES2_S2_S2_EEvlT0_NS_24const_host_device_scalarIT4_EEPKS3_PKT1_PKT2_PT3_PS3_PS5_21rocsparse_index_base_b.has_indirect_call, 0
	.section	.AMDGPU.csdata,"",@progbits
; Kernel info:
; codeLenInByte = 2644
; TotalNumSgprs: 47
; NumVgprs: 31
; ScratchSize: 0
; MemoryBound: 0
; FloatMode: 240
; IeeeMode: 1
; LDSByteSize: 3072 bytes/workgroup (compile time only)
; SGPRBlocks: 5
; VGPRBlocks: 7
; NumSGPRsForWavesPerEU: 47
; NumVGPRsForWavesPerEU: 31
; Occupancy: 8
; WaveLimiterHint : 1
; COMPUTE_PGM_RSRC2:SCRATCH_EN: 0
; COMPUTE_PGM_RSRC2:USER_SGPR: 6
; COMPUTE_PGM_RSRC2:TRAP_HANDLER: 0
; COMPUTE_PGM_RSRC2:TGID_X_EN: 1
; COMPUTE_PGM_RSRC2:TGID_Y_EN: 0
; COMPUTE_PGM_RSRC2:TGID_Z_EN: 0
; COMPUTE_PGM_RSRC2:TIDIG_COMP_CNT: 0
	.section	.text._ZN9rocsparseL29coomvn_segmented_loops_reduceILj256Ei21rocsparse_complex_numIfES2_EEvT0_NS_24const_host_device_scalarIT2_EEPKS3_PKS5_PT1_b,"axG",@progbits,_ZN9rocsparseL29coomvn_segmented_loops_reduceILj256Ei21rocsparse_complex_numIfES2_EEvT0_NS_24const_host_device_scalarIT2_EEPKS3_PKS5_PT1_b,comdat
	.globl	_ZN9rocsparseL29coomvn_segmented_loops_reduceILj256Ei21rocsparse_complex_numIfES2_EEvT0_NS_24const_host_device_scalarIT2_EEPKS3_PKS5_PT1_b ; -- Begin function _ZN9rocsparseL29coomvn_segmented_loops_reduceILj256Ei21rocsparse_complex_numIfES2_EEvT0_NS_24const_host_device_scalarIT2_EEPKS3_PKS5_PT1_b
	.p2align	8
	.type	_ZN9rocsparseL29coomvn_segmented_loops_reduceILj256Ei21rocsparse_complex_numIfES2_EEvT0_NS_24const_host_device_scalarIT2_EEPKS3_PKS5_PT1_b,@function
_ZN9rocsparseL29coomvn_segmented_loops_reduceILj256Ei21rocsparse_complex_numIfES2_EEvT0_NS_24const_host_device_scalarIT2_EEPKS3_PKS5_PT1_b: ; @_ZN9rocsparseL29coomvn_segmented_loops_reduceILj256Ei21rocsparse_complex_numIfES2_EEvT0_NS_24const_host_device_scalarIT2_EEPKS3_PKS5_PT1_b
; %bb.0:
	s_load_dword s2, s[4:5], 0x28
	s_load_dwordx2 s[0:1], s[4:5], 0x8
	s_add_u32 s3, s4, 8
	s_addc_u32 s6, s5, 0
	s_waitcnt lgkmcnt(0)
	s_bitcmp1_b32 s2, 0
	s_cselect_b32 s1, s6, s1
	s_cselect_b32 s0, s3, s0
	v_mov_b32_e32 v1, s0
	v_mov_b32_e32 v2, s1
	flat_load_dwordx2 v[1:2], v[1:2]
	s_waitcnt vmcnt(0) lgkmcnt(0)
	v_cmp_neq_f32_e32 vcc, 0, v1
	v_cmp_neq_f32_e64 s[0:1], 0, v2
	s_or_b64 s[0:1], vcc, s[0:1]
	s_and_saveexec_b64 s[2:3], s[0:1]
	s_cbranch_execz .LBB19_42
; %bb.1:
	s_load_dword s28, s[4:5], 0x0
	s_waitcnt lgkmcnt(0)
	s_cmp_lt_i32 s28, 1
	s_cbranch_scc1 .LBB19_42
; %bb.2:
	v_mov_b32_e32 v1, 0x800
	v_subrev_co_u32_e32 v2, vcc, 1, v0
	s_load_dwordx4 s[8:11], s[4:5], 0x10
	s_load_dwordx2 s[6:7], s[4:5], 0x20
	s_xor_b64 s[4:5], vcc, -1
	v_lshl_add_u32 v9, v2, 2, v1
	v_subrev_co_u32_e32 v2, vcc, 2, v0
	s_xor_b64 s[12:13], vcc, -1
	v_lshl_add_u32 v10, v2, 2, v1
	v_subrev_co_u32_e32 v2, vcc, 4, v0
	;; [unrolled: 3-line block ×6, first 2 shown]
	s_movk_i32 s0, 0x80
	v_lshlrev_b32_e32 v8, 3, v0
	s_xor_b64 s[22:23], vcc, -1
	v_lshl_add_u32 v18, v2, 2, v1
	v_subrev_co_u32_e32 v2, vcc, s0, v0
	s_movk_i32 s0, 0xff
	v_lshl_or_b32 v7, v0, 2, v1
	v_subrev_u32_e32 v13, 64, v8
	v_add_u32_e32 v15, 0xffffff80, v8
	v_add_u32_e32 v17, 0xffffff00, v8
	;; [unrolled: 1-line block ×3, first 2 shown]
	s_xor_b64 s[24:25], vcc, -1
	v_lshl_add_u32 v20, v2, 2, v1
	v_add_u32_e32 v21, 0xfffffc00, v8
	v_cmp_gt_u32_e32 vcc, s0, v0
	s_mov_b32 s29, 0
	v_mov_b32_e32 v2, 0
	s_branch .LBB19_4
.LBB19_3:                               ;   in Loop: Header=BB19_4 Depth=1
	s_or_b64 exec, exec, s[2:3]
	s_addk_i32 s29, 0x100
	s_cmp_lt_i32 s29, s28
	s_waitcnt vmcnt(0)
	s_barrier
	s_cbranch_scc0 .LBB19_42
.LBB19_4:                               ; =>This Inner Loop Header: Depth=1
	v_add_u32_e32 v5, s29, v0
	v_cmp_gt_i32_e64 s[0:1], s28, v5
	v_mov_b32_e32 v1, -1
	v_mov_b32_e32 v4, 0
	v_mov_b32_e32 v3, 0
	s_and_saveexec_b64 s[2:3], s[0:1]
	s_cbranch_execz .LBB19_6
; %bb.5:                                ;   in Loop: Header=BB19_4 Depth=1
	v_ashrrev_i32_e32 v6, 31, v5
	v_lshlrev_b64 v[3:4], 3, v[5:6]
	s_waitcnt lgkmcnt(0)
	v_mov_b32_e32 v1, s11
	v_add_co_u32_e64 v22, s[0:1], s10, v3
	v_addc_co_u32_e64 v23, s[0:1], v1, v4, s[0:1]
	v_lshlrev_b64 v[3:4], 2, v[5:6]
	v_mov_b32_e32 v1, s9
	v_add_co_u32_e64 v5, s[0:1], s8, v3
	v_addc_co_u32_e64 v6, s[0:1], v1, v4, s[0:1]
	global_load_dword v1, v[5:6], off
	global_load_dwordx2 v[3:4], v[22:23], off
.LBB19_6:                               ;   in Loop: Header=BB19_4 Depth=1
	s_or_b64 exec, exec, s[2:3]
	s_waitcnt vmcnt(1)
	ds_write_b32 v7, v1
	s_waitcnt vmcnt(0)
	ds_write_b64 v8, v[3:4]
	v_mov_b32_e32 v4, 0
	v_mov_b32_e32 v6, 0
	;; [unrolled: 1-line block ×3, first 2 shown]
	s_waitcnt lgkmcnt(0)
	s_barrier
	s_and_saveexec_b64 s[2:3], s[4:5]
	s_cbranch_execz .LBB19_10
; %bb.7:                                ;   in Loop: Header=BB19_4 Depth=1
	ds_read2_b32 v[22:23], v9 offset1:1
	v_mov_b32_e32 v5, 0
	v_mov_b32_e32 v6, 0
	s_waitcnt lgkmcnt(0)
	v_cmp_eq_u32_e64 s[0:1], v23, v22
	s_and_saveexec_b64 s[26:27], s[0:1]
; %bb.8:                                ;   in Loop: Header=BB19_4 Depth=1
	v_add_u32_e32 v1, -8, v8
	ds_read_b64 v[5:6], v1
; %bb.9:                                ;   in Loop: Header=BB19_4 Depth=1
	s_or_b64 exec, exec, s[26:27]
.LBB19_10:                              ;   in Loop: Header=BB19_4 Depth=1
	s_or_b64 exec, exec, s[2:3]
	s_waitcnt lgkmcnt(0)
	s_barrier
	ds_read_b64 v[22:23], v8
	v_mov_b32_e32 v3, 0
	s_waitcnt lgkmcnt(0)
	v_add_f32_e32 v5, v5, v22
	v_add_f32_e32 v6, v6, v23
	ds_write_b64 v8, v[5:6]
	s_waitcnt lgkmcnt(0)
	s_barrier
	s_and_saveexec_b64 s[2:3], s[12:13]
	s_cbranch_execz .LBB19_14
; %bb.11:                               ;   in Loop: Header=BB19_4 Depth=1
	ds_read_b32 v1, v7
	ds_read_b32 v4, v10
	v_mov_b32_e32 v3, 0
	s_waitcnt lgkmcnt(0)
	v_cmp_eq_u32_e64 s[0:1], v1, v4
	v_mov_b32_e32 v4, 0
	s_and_saveexec_b64 s[26:27], s[0:1]
; %bb.12:                               ;   in Loop: Header=BB19_4 Depth=1
	v_add_u32_e32 v1, -16, v8
	ds_read_b64 v[3:4], v1
; %bb.13:                               ;   in Loop: Header=BB19_4 Depth=1
	s_or_b64 exec, exec, s[26:27]
.LBB19_14:                              ;   in Loop: Header=BB19_4 Depth=1
	s_or_b64 exec, exec, s[2:3]
	s_waitcnt lgkmcnt(0)
	s_barrier
	ds_read_b64 v[5:6], v8
	s_waitcnt lgkmcnt(0)
	v_add_f32_e32 v3, v3, v5
	v_add_f32_e32 v4, v4, v6
	ds_write_b64 v8, v[3:4]
	v_mov_b32_e32 v4, 0
	v_mov_b32_e32 v6, 0
	;; [unrolled: 1-line block ×3, first 2 shown]
	s_waitcnt lgkmcnt(0)
	s_barrier
	s_and_saveexec_b64 s[2:3], s[14:15]
	s_cbranch_execz .LBB19_18
; %bb.15:                               ;   in Loop: Header=BB19_4 Depth=1
	ds_read_b32 v1, v7
	ds_read_b32 v3, v11
	v_mov_b32_e32 v5, 0
	v_mov_b32_e32 v6, 0
	s_waitcnt lgkmcnt(0)
	v_cmp_eq_u32_e64 s[0:1], v1, v3
	s_and_saveexec_b64 s[26:27], s[0:1]
; %bb.16:                               ;   in Loop: Header=BB19_4 Depth=1
	v_subrev_u32_e32 v1, 32, v8
	ds_read_b64 v[5:6], v1
; %bb.17:                               ;   in Loop: Header=BB19_4 Depth=1
	s_or_b64 exec, exec, s[26:27]
.LBB19_18:                              ;   in Loop: Header=BB19_4 Depth=1
	s_or_b64 exec, exec, s[2:3]
	s_waitcnt lgkmcnt(0)
	s_barrier
	ds_read_b64 v[22:23], v8
	v_mov_b32_e32 v3, 0
	s_waitcnt lgkmcnt(0)
	v_add_f32_e32 v5, v5, v22
	v_add_f32_e32 v6, v6, v23
	ds_write_b64 v8, v[5:6]
	s_waitcnt lgkmcnt(0)
	s_barrier
	s_and_saveexec_b64 s[2:3], s[16:17]
	s_cbranch_execz .LBB19_22
; %bb.19:                               ;   in Loop: Header=BB19_4 Depth=1
	ds_read_b32 v1, v7
	ds_read_b32 v4, v12
	v_mov_b32_e32 v3, 0
	s_waitcnt lgkmcnt(0)
	v_cmp_eq_u32_e64 s[0:1], v1, v4
	v_mov_b32_e32 v4, 0
	s_and_saveexec_b64 s[26:27], s[0:1]
; %bb.20:                               ;   in Loop: Header=BB19_4 Depth=1
	ds_read_b64 v[3:4], v13
; %bb.21:                               ;   in Loop: Header=BB19_4 Depth=1
	s_or_b64 exec, exec, s[26:27]
.LBB19_22:                              ;   in Loop: Header=BB19_4 Depth=1
	s_or_b64 exec, exec, s[2:3]
	s_waitcnt lgkmcnt(0)
	s_barrier
	ds_read_b64 v[5:6], v8
	s_waitcnt lgkmcnt(0)
	v_add_f32_e32 v3, v3, v5
	v_add_f32_e32 v4, v4, v6
	ds_write_b64 v8, v[3:4]
	v_mov_b32_e32 v4, 0
	v_mov_b32_e32 v6, 0
	;; [unrolled: 1-line block ×3, first 2 shown]
	s_waitcnt lgkmcnt(0)
	s_barrier
	s_and_saveexec_b64 s[2:3], s[18:19]
	s_cbranch_execz .LBB19_26
; %bb.23:                               ;   in Loop: Header=BB19_4 Depth=1
	ds_read_b32 v1, v7
	ds_read_b32 v3, v14
	v_mov_b32_e32 v5, 0
	v_mov_b32_e32 v6, 0
	s_waitcnt lgkmcnt(0)
	v_cmp_eq_u32_e64 s[0:1], v1, v3
	s_and_saveexec_b64 s[26:27], s[0:1]
; %bb.24:                               ;   in Loop: Header=BB19_4 Depth=1
	ds_read_b64 v[5:6], v15
; %bb.25:                               ;   in Loop: Header=BB19_4 Depth=1
	s_or_b64 exec, exec, s[26:27]
.LBB19_26:                              ;   in Loop: Header=BB19_4 Depth=1
	s_or_b64 exec, exec, s[2:3]
	s_waitcnt lgkmcnt(0)
	s_barrier
	ds_read_b64 v[22:23], v8
	v_mov_b32_e32 v3, 0
	s_waitcnt lgkmcnt(0)
	v_add_f32_e32 v5, v5, v22
	v_add_f32_e32 v6, v6, v23
	ds_write_b64 v8, v[5:6]
	s_waitcnt lgkmcnt(0)
	s_barrier
	s_and_saveexec_b64 s[2:3], s[20:21]
	s_cbranch_execz .LBB19_30
; %bb.27:                               ;   in Loop: Header=BB19_4 Depth=1
	ds_read_b32 v1, v7
	ds_read_b32 v4, v16
	v_mov_b32_e32 v3, 0
	s_waitcnt lgkmcnt(0)
	v_cmp_eq_u32_e64 s[0:1], v1, v4
	v_mov_b32_e32 v4, 0
	s_and_saveexec_b64 s[26:27], s[0:1]
; %bb.28:                               ;   in Loop: Header=BB19_4 Depth=1
	ds_read_b64 v[3:4], v17
; %bb.29:                               ;   in Loop: Header=BB19_4 Depth=1
	s_or_b64 exec, exec, s[26:27]
.LBB19_30:                              ;   in Loop: Header=BB19_4 Depth=1
	s_or_b64 exec, exec, s[2:3]
	s_waitcnt lgkmcnt(0)
	s_barrier
	ds_read_b64 v[5:6], v8
	s_waitcnt lgkmcnt(0)
	v_add_f32_e32 v3, v3, v5
	v_add_f32_e32 v4, v4, v6
	ds_write_b64 v8, v[3:4]
	v_mov_b32_e32 v4, 0
	v_mov_b32_e32 v6, 0
	;; [unrolled: 1-line block ×3, first 2 shown]
	s_waitcnt lgkmcnt(0)
	s_barrier
	s_and_saveexec_b64 s[2:3], s[22:23]
	s_cbranch_execz .LBB19_34
; %bb.31:                               ;   in Loop: Header=BB19_4 Depth=1
	ds_read_b32 v1, v7
	ds_read_b32 v3, v18
	v_mov_b32_e32 v5, 0
	v_mov_b32_e32 v6, 0
	s_waitcnt lgkmcnt(0)
	v_cmp_eq_u32_e64 s[0:1], v1, v3
	s_and_saveexec_b64 s[26:27], s[0:1]
; %bb.32:                               ;   in Loop: Header=BB19_4 Depth=1
	ds_read_b64 v[5:6], v19
; %bb.33:                               ;   in Loop: Header=BB19_4 Depth=1
	s_or_b64 exec, exec, s[26:27]
.LBB19_34:                              ;   in Loop: Header=BB19_4 Depth=1
	s_or_b64 exec, exec, s[2:3]
	s_waitcnt lgkmcnt(0)
	s_barrier
	ds_read_b64 v[22:23], v8
	v_mov_b32_e32 v3, 0
	s_waitcnt lgkmcnt(0)
	v_add_f32_e32 v5, v5, v22
	v_add_f32_e32 v6, v6, v23
	ds_write_b64 v8, v[5:6]
	s_waitcnt lgkmcnt(0)
	s_barrier
	s_and_saveexec_b64 s[2:3], s[24:25]
	s_cbranch_execz .LBB19_38
; %bb.35:                               ;   in Loop: Header=BB19_4 Depth=1
	ds_read_b32 v1, v7
	ds_read_b32 v4, v20
	v_mov_b32_e32 v3, 0
	s_waitcnt lgkmcnt(0)
	v_cmp_eq_u32_e64 s[0:1], v1, v4
	v_mov_b32_e32 v4, 0
	s_and_saveexec_b64 s[26:27], s[0:1]
; %bb.36:                               ;   in Loop: Header=BB19_4 Depth=1
	ds_read_b64 v[3:4], v21
; %bb.37:                               ;   in Loop: Header=BB19_4 Depth=1
	s_or_b64 exec, exec, s[26:27]
.LBB19_38:                              ;   in Loop: Header=BB19_4 Depth=1
	s_or_b64 exec, exec, s[2:3]
	s_waitcnt lgkmcnt(0)
	s_barrier
	ds_read_b64 v[5:6], v8
	s_waitcnt lgkmcnt(0)
	v_add_f32_e32 v3, v3, v5
	v_add_f32_e32 v4, v4, v6
	ds_write_b64 v8, v[3:4]
	s_waitcnt lgkmcnt(0)
	s_barrier
	ds_read_b32 v1, v7
	v_mov_b32_e32 v3, -1
	s_and_saveexec_b64 s[0:1], vcc
; %bb.39:                               ;   in Loop: Header=BB19_4 Depth=1
	ds_read_b32 v3, v7 offset:4
; %bb.40:                               ;   in Loop: Header=BB19_4 Depth=1
	s_or_b64 exec, exec, s[0:1]
	s_waitcnt lgkmcnt(0)
	v_cmp_ne_u32_e64 s[0:1], v1, v3
	v_cmp_lt_i32_e64 s[2:3], -1, v1
	s_and_b64 s[0:1], s[2:3], s[0:1]
	s_and_saveexec_b64 s[2:3], s[0:1]
	s_cbranch_execz .LBB19_3
; %bb.41:                               ;   in Loop: Header=BB19_4 Depth=1
	v_lshlrev_b64 v[3:4], 3, v[1:2]
	v_mov_b32_e32 v1, s7
	v_add_co_u32_e64 v3, s[0:1], s6, v3
	v_addc_co_u32_e64 v4, s[0:1], v1, v4, s[0:1]
	global_load_dwordx2 v[5:6], v[3:4], off
	ds_read_b64 v[22:23], v8
	s_waitcnt vmcnt(0) lgkmcnt(0)
	v_add_f32_e32 v5, v22, v5
	v_add_f32_e32 v6, v23, v6
	global_store_dwordx2 v[3:4], v[5:6], off
	s_branch .LBB19_3
.LBB19_42:
	s_endpgm
	.section	.rodata,"a",@progbits
	.p2align	6, 0x0
	.amdhsa_kernel _ZN9rocsparseL29coomvn_segmented_loops_reduceILj256Ei21rocsparse_complex_numIfES2_EEvT0_NS_24const_host_device_scalarIT2_EEPKS3_PKS5_PT1_b
		.amdhsa_group_segment_fixed_size 3072
		.amdhsa_private_segment_fixed_size 0
		.amdhsa_kernarg_size 44
		.amdhsa_user_sgpr_count 6
		.amdhsa_user_sgpr_private_segment_buffer 1
		.amdhsa_user_sgpr_dispatch_ptr 0
		.amdhsa_user_sgpr_queue_ptr 0
		.amdhsa_user_sgpr_kernarg_segment_ptr 1
		.amdhsa_user_sgpr_dispatch_id 0
		.amdhsa_user_sgpr_flat_scratch_init 0
		.amdhsa_user_sgpr_private_segment_size 0
		.amdhsa_uses_dynamic_stack 0
		.amdhsa_system_sgpr_private_segment_wavefront_offset 0
		.amdhsa_system_sgpr_workgroup_id_x 1
		.amdhsa_system_sgpr_workgroup_id_y 0
		.amdhsa_system_sgpr_workgroup_id_z 0
		.amdhsa_system_sgpr_workgroup_info 0
		.amdhsa_system_vgpr_workitem_id 0
		.amdhsa_next_free_vgpr 24
		.amdhsa_next_free_sgpr 30
		.amdhsa_reserve_vcc 1
		.amdhsa_reserve_flat_scratch 0
		.amdhsa_float_round_mode_32 0
		.amdhsa_float_round_mode_16_64 0
		.amdhsa_float_denorm_mode_32 3
		.amdhsa_float_denorm_mode_16_64 3
		.amdhsa_dx10_clamp 1
		.amdhsa_ieee_mode 1
		.amdhsa_fp16_overflow 0
		.amdhsa_exception_fp_ieee_invalid_op 0
		.amdhsa_exception_fp_denorm_src 0
		.amdhsa_exception_fp_ieee_div_zero 0
		.amdhsa_exception_fp_ieee_overflow 0
		.amdhsa_exception_fp_ieee_underflow 0
		.amdhsa_exception_fp_ieee_inexact 0
		.amdhsa_exception_int_div_zero 0
	.end_amdhsa_kernel
	.section	.text._ZN9rocsparseL29coomvn_segmented_loops_reduceILj256Ei21rocsparse_complex_numIfES2_EEvT0_NS_24const_host_device_scalarIT2_EEPKS3_PKS5_PT1_b,"axG",@progbits,_ZN9rocsparseL29coomvn_segmented_loops_reduceILj256Ei21rocsparse_complex_numIfES2_EEvT0_NS_24const_host_device_scalarIT2_EEPKS3_PKS5_PT1_b,comdat
.Lfunc_end19:
	.size	_ZN9rocsparseL29coomvn_segmented_loops_reduceILj256Ei21rocsparse_complex_numIfES2_EEvT0_NS_24const_host_device_scalarIT2_EEPKS3_PKS5_PT1_b, .Lfunc_end19-_ZN9rocsparseL29coomvn_segmented_loops_reduceILj256Ei21rocsparse_complex_numIfES2_EEvT0_NS_24const_host_device_scalarIT2_EEPKS3_PKS5_PT1_b
                                        ; -- End function
	.set _ZN9rocsparseL29coomvn_segmented_loops_reduceILj256Ei21rocsparse_complex_numIfES2_EEvT0_NS_24const_host_device_scalarIT2_EEPKS3_PKS5_PT1_b.num_vgpr, 24
	.set _ZN9rocsparseL29coomvn_segmented_loops_reduceILj256Ei21rocsparse_complex_numIfES2_EEvT0_NS_24const_host_device_scalarIT2_EEPKS3_PKS5_PT1_b.num_agpr, 0
	.set _ZN9rocsparseL29coomvn_segmented_loops_reduceILj256Ei21rocsparse_complex_numIfES2_EEvT0_NS_24const_host_device_scalarIT2_EEPKS3_PKS5_PT1_b.numbered_sgpr, 30
	.set _ZN9rocsparseL29coomvn_segmented_loops_reduceILj256Ei21rocsparse_complex_numIfES2_EEvT0_NS_24const_host_device_scalarIT2_EEPKS3_PKS5_PT1_b.num_named_barrier, 0
	.set _ZN9rocsparseL29coomvn_segmented_loops_reduceILj256Ei21rocsparse_complex_numIfES2_EEvT0_NS_24const_host_device_scalarIT2_EEPKS3_PKS5_PT1_b.private_seg_size, 0
	.set _ZN9rocsparseL29coomvn_segmented_loops_reduceILj256Ei21rocsparse_complex_numIfES2_EEvT0_NS_24const_host_device_scalarIT2_EEPKS3_PKS5_PT1_b.uses_vcc, 1
	.set _ZN9rocsparseL29coomvn_segmented_loops_reduceILj256Ei21rocsparse_complex_numIfES2_EEvT0_NS_24const_host_device_scalarIT2_EEPKS3_PKS5_PT1_b.uses_flat_scratch, 0
	.set _ZN9rocsparseL29coomvn_segmented_loops_reduceILj256Ei21rocsparse_complex_numIfES2_EEvT0_NS_24const_host_device_scalarIT2_EEPKS3_PKS5_PT1_b.has_dyn_sized_stack, 0
	.set _ZN9rocsparseL29coomvn_segmented_loops_reduceILj256Ei21rocsparse_complex_numIfES2_EEvT0_NS_24const_host_device_scalarIT2_EEPKS3_PKS5_PT1_b.has_recursion, 0
	.set _ZN9rocsparseL29coomvn_segmented_loops_reduceILj256Ei21rocsparse_complex_numIfES2_EEvT0_NS_24const_host_device_scalarIT2_EEPKS3_PKS5_PT1_b.has_indirect_call, 0
	.section	.AMDGPU.csdata,"",@progbits
; Kernel info:
; codeLenInByte = 1564
; TotalNumSgprs: 34
; NumVgprs: 24
; ScratchSize: 0
; MemoryBound: 0
; FloatMode: 240
; IeeeMode: 1
; LDSByteSize: 3072 bytes/workgroup (compile time only)
; SGPRBlocks: 4
; VGPRBlocks: 5
; NumSGPRsForWavesPerEU: 34
; NumVGPRsForWavesPerEU: 24
; Occupancy: 10
; WaveLimiterHint : 0
; COMPUTE_PGM_RSRC2:SCRATCH_EN: 0
; COMPUTE_PGM_RSRC2:USER_SGPR: 6
; COMPUTE_PGM_RSRC2:TRAP_HANDLER: 0
; COMPUTE_PGM_RSRC2:TGID_X_EN: 1
; COMPUTE_PGM_RSRC2:TGID_Y_EN: 0
; COMPUTE_PGM_RSRC2:TGID_Z_EN: 0
; COMPUTE_PGM_RSRC2:TIDIG_COMP_CNT: 0
	.section	.text._ZN9rocsparseL23coomvn_aos_atomic_loopsILj256ELj1El21rocsparse_complex_numIfES2_S2_S2_EEvlNS_24const_host_device_scalarIT5_EEPKT1_PKT2_PKT3_PT4_21rocsparse_index_base_b,"axG",@progbits,_ZN9rocsparseL23coomvn_aos_atomic_loopsILj256ELj1El21rocsparse_complex_numIfES2_S2_S2_EEvlNS_24const_host_device_scalarIT5_EEPKT1_PKT2_PKT3_PT4_21rocsparse_index_base_b,comdat
	.globl	_ZN9rocsparseL23coomvn_aos_atomic_loopsILj256ELj1El21rocsparse_complex_numIfES2_S2_S2_EEvlNS_24const_host_device_scalarIT5_EEPKT1_PKT2_PKT3_PT4_21rocsparse_index_base_b ; -- Begin function _ZN9rocsparseL23coomvn_aos_atomic_loopsILj256ELj1El21rocsparse_complex_numIfES2_S2_S2_EEvlNS_24const_host_device_scalarIT5_EEPKT1_PKT2_PKT3_PT4_21rocsparse_index_base_b
	.p2align	8
	.type	_ZN9rocsparseL23coomvn_aos_atomic_loopsILj256ELj1El21rocsparse_complex_numIfES2_S2_S2_EEvlNS_24const_host_device_scalarIT5_EEPKT1_PKT2_PKT3_PT4_21rocsparse_index_base_b,@function
_ZN9rocsparseL23coomvn_aos_atomic_loopsILj256ELj1El21rocsparse_complex_numIfES2_S2_S2_EEvlNS_24const_host_device_scalarIT5_EEPKT1_PKT2_PKT3_PT4_21rocsparse_index_base_b: ; @_ZN9rocsparseL23coomvn_aos_atomic_loopsILj256ELj1El21rocsparse_complex_numIfES2_S2_S2_EEvlNS_24const_host_device_scalarIT5_EEPKT1_PKT2_PKT3_PT4_21rocsparse_index_base_b
; %bb.0:
	s_load_dwordx2 s[2:3], s[4:5], 0x30
	s_load_dwordx4 s[8:11], s[4:5], 0x0
	s_or_b32 s0, s4, 8
	s_waitcnt lgkmcnt(0)
	s_bitcmp1_b32 s3, 0
	s_cselect_b32 s1, s5, s11
	s_cselect_b32 s0, s0, s10
	v_mov_b32_e32 v1, s0
	v_mov_b32_e32 v2, s1
	flat_load_dwordx2 v[1:2], v[1:2]
	s_waitcnt vmcnt(0) lgkmcnt(0)
	v_cmp_neq_f32_e32 vcc, 0, v1
	v_cmp_neq_f32_e64 s[0:1], 0, v2
	s_or_b64 s[0:1], vcc, s[0:1]
	s_and_saveexec_b64 s[10:11], s[0:1]
	s_cbranch_execz .LBB20_46
; %bb.1:
	v_lshl_or_b32 v7, s6, 8, v0
	v_mov_b32_e32 v8, 0
	v_cmp_gt_i64_e32 vcc, s[8:9], v[7:8]
	v_mov_b32_e32 v5, -1
	v_mov_b32_e32 v6, -1
	v_mov_b32_e32 v3, v8
	v_mov_b32_e32 v4, v8
	s_and_saveexec_b64 s[0:1], vcc
	s_cbranch_execz .LBB20_3
; %bb.2:
	s_load_dwordx4 s[8:11], s[4:5], 0x10
	s_load_dwordx2 s[6:7], s[4:5], 0x20
	v_lshlrev_b64 v[3:4], 4, v[7:8]
	v_lshlrev_b64 v[7:8], 3, v[7:8]
	s_waitcnt lgkmcnt(0)
	v_mov_b32_e32 v5, s9
	v_add_co_u32_e32 v3, vcc, s8, v3
	v_addc_co_u32_e32 v4, vcc, v5, v4, vcc
	global_load_dwordx4 v[3:6], v[3:4], off glc slc
	v_mov_b32_e32 v9, s11
	v_add_co_u32_e32 v7, vcc, s10, v7
	v_addc_co_u32_e32 v8, vcc, v9, v8, vcc
	v_mov_b32_e32 v10, s7
	global_load_dwordx2 v[7:8], v[7:8], off glc slc
	s_waitcnt vmcnt(1)
	v_subrev_co_u32_e32 v5, vcc, s2, v5
	v_subbrev_co_u32_e32 v6, vcc, 0, v6, vcc
	v_lshlrev_b64 v[5:6], 3, v[5:6]
	v_add_co_u32_e32 v5, vcc, s6, v5
	v_addc_co_u32_e32 v6, vcc, v10, v6, vcc
	global_load_dwordx2 v[9:10], v[5:6], off
	v_subrev_co_u32_e32 v5, vcc, s2, v3
	v_subbrev_co_u32_e32 v6, vcc, 0, v4, vcc
	s_waitcnt vmcnt(0)
	v_mul_f32_e64 v3, v10, -v8
	v_mul_f32_e32 v4, v7, v10
	v_fmac_f32_e32 v3, v7, v9
	v_fmac_f32_e32 v4, v8, v9
.LBB20_3:
	s_or_b64 exec, exec, s[0:1]
	v_lshlrev_b32_e32 v7, 3, v0
	v_or_b32_e32 v8, 0x800, v7
	v_cmp_ne_u32_e32 vcc, 0, v0
	ds_write2st64_b64 v7, v[5:6], v[3:4] offset1:4
	s_waitcnt lgkmcnt(0)
	s_barrier
	s_and_saveexec_b64 s[0:1], vcc
	s_cbranch_execz .LBB20_7
; %bb.4:
	v_add_u32_e32 v9, -8, v7
	ds_read_b64 v[9:10], v9
	s_waitcnt lgkmcnt(0)
	v_cmp_eq_u64_e32 vcc, v[5:6], v[9:10]
	s_and_saveexec_b64 s[2:3], vcc
	s_cbranch_execz .LBB20_6
; %bb.5:
	v_add_u32_e32 v9, -8, v8
	ds_read_b64 v[9:10], v9
	s_waitcnt lgkmcnt(0)
	v_add_f32_e32 v3, v3, v9
	v_add_f32_e32 v4, v4, v10
.LBB20_6:
	s_or_b64 exec, exec, s[2:3]
.LBB20_7:
	s_or_b64 exec, exec, s[0:1]
	v_cmp_lt_u32_e32 vcc, 1, v0
	s_barrier
	ds_write_b64 v8, v[3:4]
	s_waitcnt lgkmcnt(0)
	s_barrier
	s_and_saveexec_b64 s[0:1], vcc
	s_cbranch_execz .LBB20_11
; %bb.8:
	v_add_u32_e32 v9, -16, v7
	ds_read_b64 v[9:10], v9
	s_waitcnt lgkmcnt(0)
	v_cmp_eq_u64_e32 vcc, v[5:6], v[9:10]
	s_and_saveexec_b64 s[2:3], vcc
	s_cbranch_execz .LBB20_10
; %bb.9:
	v_add_u32_e32 v9, -16, v8
	ds_read_b64 v[9:10], v9
	s_waitcnt lgkmcnt(0)
	v_add_f32_e32 v3, v3, v9
	v_add_f32_e32 v4, v4, v10
.LBB20_10:
	s_or_b64 exec, exec, s[2:3]
.LBB20_11:
	s_or_b64 exec, exec, s[0:1]
	v_cmp_lt_u32_e32 vcc, 3, v0
	s_barrier
	ds_write_b64 v8, v[3:4]
	s_waitcnt lgkmcnt(0)
	s_barrier
	s_and_saveexec_b64 s[0:1], vcc
	s_cbranch_execz .LBB20_15
; %bb.12:
	v_subrev_u32_e32 v9, 32, v7
	ds_read_b64 v[9:10], v9
	s_waitcnt lgkmcnt(0)
	v_cmp_eq_u64_e32 vcc, v[5:6], v[9:10]
	s_and_saveexec_b64 s[2:3], vcc
	s_cbranch_execz .LBB20_14
; %bb.13:
	v_subrev_u32_e32 v9, 32, v8
	ds_read_b64 v[9:10], v9
	s_waitcnt lgkmcnt(0)
	v_add_f32_e32 v3, v3, v9
	v_add_f32_e32 v4, v4, v10
.LBB20_14:
	s_or_b64 exec, exec, s[2:3]
.LBB20_15:
	s_or_b64 exec, exec, s[0:1]
	v_cmp_lt_u32_e32 vcc, 7, v0
	s_barrier
	ds_write_b64 v8, v[3:4]
	s_waitcnt lgkmcnt(0)
	s_barrier
	s_and_saveexec_b64 s[0:1], vcc
	s_cbranch_execz .LBB20_19
; %bb.16:
	v_subrev_u32_e32 v9, 64, v7
	ds_read_b64 v[9:10], v9
	s_waitcnt lgkmcnt(0)
	v_cmp_eq_u64_e32 vcc, v[5:6], v[9:10]
	s_and_saveexec_b64 s[2:3], vcc
	s_cbranch_execz .LBB20_18
; %bb.17:
	v_subrev_u32_e32 v9, 64, v8
	ds_read_b64 v[9:10], v9
	s_waitcnt lgkmcnt(0)
	v_add_f32_e32 v3, v3, v9
	v_add_f32_e32 v4, v4, v10
.LBB20_18:
	s_or_b64 exec, exec, s[2:3]
.LBB20_19:
	s_or_b64 exec, exec, s[0:1]
	v_cmp_lt_u32_e32 vcc, 15, v0
	s_barrier
	ds_write_b64 v8, v[3:4]
	s_waitcnt lgkmcnt(0)
	s_barrier
	s_and_saveexec_b64 s[0:1], vcc
	s_cbranch_execz .LBB20_23
; %bb.20:
	v_add_u32_e32 v9, 0xffffff80, v7
	ds_read_b64 v[9:10], v9
	s_waitcnt lgkmcnt(0)
	v_cmp_eq_u64_e32 vcc, v[5:6], v[9:10]
	s_and_saveexec_b64 s[2:3], vcc
	s_cbranch_execz .LBB20_22
; %bb.21:
	v_add_u32_e32 v9, 0xffffff80, v8
	ds_read_b64 v[9:10], v9
	s_waitcnt lgkmcnt(0)
	v_add_f32_e32 v3, v3, v9
	v_add_f32_e32 v4, v4, v10
.LBB20_22:
	s_or_b64 exec, exec, s[2:3]
.LBB20_23:
	s_or_b64 exec, exec, s[0:1]
	v_cmp_lt_u32_e32 vcc, 31, v0
	s_barrier
	ds_write_b64 v8, v[3:4]
	s_waitcnt lgkmcnt(0)
	s_barrier
	s_and_saveexec_b64 s[0:1], vcc
	s_cbranch_execz .LBB20_27
; %bb.24:
	v_add_u32_e32 v9, 0xffffff00, v7
	ds_read_b64 v[9:10], v9
	s_waitcnt lgkmcnt(0)
	v_cmp_eq_u64_e32 vcc, v[5:6], v[9:10]
	s_and_saveexec_b64 s[2:3], vcc
	s_cbranch_execz .LBB20_26
; %bb.25:
	v_add_u32_e32 v9, 0xffffff00, v8
	ds_read_b64 v[9:10], v9
	s_waitcnt lgkmcnt(0)
	v_add_f32_e32 v3, v3, v9
	v_add_f32_e32 v4, v4, v10
.LBB20_26:
	s_or_b64 exec, exec, s[2:3]
.LBB20_27:
	;; [unrolled: 24-line block ×3, first 2 shown]
	s_or_b64 exec, exec, s[0:1]
	s_load_dwordx2 s[2:3], s[4:5], 0x28
	s_movk_i32 s0, 0x7f
	v_cmp_lt_u32_e32 vcc, s0, v0
	s_waitcnt lgkmcnt(0)
	s_barrier
	ds_write_b64 v8, v[3:4]
	s_waitcnt lgkmcnt(0)
	s_barrier
	s_and_saveexec_b64 s[0:1], vcc
	s_cbranch_execz .LBB20_35
; %bb.32:
	v_add_u32_e32 v9, 0xfffffc00, v7
	ds_read_b64 v[9:10], v9
	s_waitcnt lgkmcnt(0)
	v_cmp_eq_u64_e32 vcc, v[5:6], v[9:10]
	s_and_saveexec_b64 s[4:5], vcc
	s_cbranch_execz .LBB20_34
; %bb.33:
	v_add_u32_e32 v9, 0xfffffc00, v8
	ds_read_b64 v[9:10], v9
	s_waitcnt lgkmcnt(0)
	v_add_f32_e32 v3, v3, v9
	v_add_f32_e32 v4, v4, v10
.LBB20_34:
	s_or_b64 exec, exec, s[4:5]
.LBB20_35:
	s_or_b64 exec, exec, s[0:1]
	s_movk_i32 s6, 0xff
	v_cmp_gt_u32_e32 vcc, s6, v0
	s_barrier
	ds_write_b64 v8, v[3:4]
	s_waitcnt lgkmcnt(0)
	s_barrier
	s_and_saveexec_b64 s[4:5], vcc
	s_cbranch_execz .LBB20_41
; %bb.36:
	ds_read_b64 v[7:8], v7 offset:8
	v_cmp_lt_i64_e64 s[0:1], -1, v[5:6]
	s_waitcnt lgkmcnt(0)
	v_cmp_ne_u64_e32 vcc, v[5:6], v[7:8]
	s_and_b64 s[0:1], s[0:1], vcc
	s_and_b64 exec, exec, s[0:1]
	s_cbranch_execz .LBB20_41
; %bb.37:
	v_lshlrev_b64 v[7:8], 3, v[5:6]
	v_mov_b32_e32 v9, s3
	v_add_co_u32_e32 v7, vcc, s2, v7
	v_addc_co_u32_e32 v8, vcc, v9, v8, vcc
	global_load_dword v10, v[7:8], off
	v_mul_f32_e64 v11, v4, -v2
	v_fmac_f32_e32 v11, v1, v3
	s_mov_b64 s[0:1], 0
.LBB20_38:                              ; =>This Inner Loop Header: Depth=1
	s_waitcnt vmcnt(0)
	v_add_f32_e32 v9, v10, v11
	global_atomic_cmpswap v9, v[7:8], v[9:10], off glc
	s_waitcnt vmcnt(0)
	v_cmp_eq_u32_e32 vcc, v9, v10
	s_or_b64 s[0:1], vcc, s[0:1]
	v_mov_b32_e32 v10, v9
	s_andn2_b64 exec, exec, s[0:1]
	s_cbranch_execnz .LBB20_38
; %bb.39:
	s_or_b64 exec, exec, s[0:1]
	global_load_dword v10, v[7:8], off offset:4
	v_mul_f32_e32 v11, v1, v4
	v_fmac_f32_e32 v11, v2, v3
	s_mov_b64 s[0:1], 0
.LBB20_40:                              ; =>This Inner Loop Header: Depth=1
	s_waitcnt vmcnt(0)
	v_add_f32_e32 v9, v10, v11
	global_atomic_cmpswap v9, v[7:8], v[9:10], off offset:4 glc
	s_waitcnt vmcnt(0)
	v_cmp_eq_u32_e32 vcc, v9, v10
	s_or_b64 s[0:1], vcc, s[0:1]
	v_mov_b32_e32 v10, v9
	s_andn2_b64 exec, exec, s[0:1]
	s_cbranch_execnz .LBB20_40
.LBB20_41:
	s_or_b64 exec, exec, s[4:5]
	v_cmp_lt_i64_e32 vcc, -1, v[5:6]
	v_cmp_eq_u32_e64 s[0:1], s6, v0
	s_and_b64 s[0:1], s[0:1], vcc
	s_and_b64 exec, exec, s[0:1]
	s_cbranch_execz .LBB20_46
; %bb.42:
	v_lshlrev_b64 v[5:6], 3, v[5:6]
	v_mov_b32_e32 v0, s3
	v_add_co_u32_e32 v5, vcc, s2, v5
	v_addc_co_u32_e32 v6, vcc, v0, v6, vcc
	global_load_dword v8, v[5:6], off
	v_mul_f32_e64 v0, v4, -v2
	v_fmac_f32_e32 v0, v1, v3
	s_mov_b64 s[0:1], 0
.LBB20_43:                              ; =>This Inner Loop Header: Depth=1
	s_waitcnt vmcnt(0)
	v_add_f32_e32 v7, v8, v0
	global_atomic_cmpswap v7, v[5:6], v[7:8], off glc
	s_waitcnt vmcnt(0)
	v_cmp_eq_u32_e32 vcc, v7, v8
	s_or_b64 s[0:1], vcc, s[0:1]
	v_mov_b32_e32 v8, v7
	s_andn2_b64 exec, exec, s[0:1]
	s_cbranch_execnz .LBB20_43
; %bb.44:
	s_or_b64 exec, exec, s[0:1]
	global_load_dword v8, v[5:6], off offset:4
	v_mul_f32_e32 v0, v1, v4
	v_fmac_f32_e32 v0, v2, v3
	s_mov_b64 s[0:1], 0
.LBB20_45:                              ; =>This Inner Loop Header: Depth=1
	s_waitcnt vmcnt(0)
	v_add_f32_e32 v7, v8, v0
	global_atomic_cmpswap v1, v[5:6], v[7:8], off offset:4 glc
	s_waitcnt vmcnt(0)
	v_cmp_eq_u32_e32 vcc, v1, v8
	s_or_b64 s[0:1], vcc, s[0:1]
	v_mov_b32_e32 v8, v1
	s_andn2_b64 exec, exec, s[0:1]
	s_cbranch_execnz .LBB20_45
.LBB20_46:
	s_endpgm
	.section	.rodata,"a",@progbits
	.p2align	6, 0x0
	.amdhsa_kernel _ZN9rocsparseL23coomvn_aos_atomic_loopsILj256ELj1El21rocsparse_complex_numIfES2_S2_S2_EEvlNS_24const_host_device_scalarIT5_EEPKT1_PKT2_PKT3_PT4_21rocsparse_index_base_b
		.amdhsa_group_segment_fixed_size 4096
		.amdhsa_private_segment_fixed_size 0
		.amdhsa_kernarg_size 56
		.amdhsa_user_sgpr_count 6
		.amdhsa_user_sgpr_private_segment_buffer 1
		.amdhsa_user_sgpr_dispatch_ptr 0
		.amdhsa_user_sgpr_queue_ptr 0
		.amdhsa_user_sgpr_kernarg_segment_ptr 1
		.amdhsa_user_sgpr_dispatch_id 0
		.amdhsa_user_sgpr_flat_scratch_init 0
		.amdhsa_user_sgpr_private_segment_size 0
		.amdhsa_uses_dynamic_stack 0
		.amdhsa_system_sgpr_private_segment_wavefront_offset 0
		.amdhsa_system_sgpr_workgroup_id_x 1
		.amdhsa_system_sgpr_workgroup_id_y 0
		.amdhsa_system_sgpr_workgroup_id_z 0
		.amdhsa_system_sgpr_workgroup_info 0
		.amdhsa_system_vgpr_workitem_id 0
		.amdhsa_next_free_vgpr 12
		.amdhsa_next_free_sgpr 12
		.amdhsa_reserve_vcc 1
		.amdhsa_reserve_flat_scratch 0
		.amdhsa_float_round_mode_32 0
		.amdhsa_float_round_mode_16_64 0
		.amdhsa_float_denorm_mode_32 3
		.amdhsa_float_denorm_mode_16_64 3
		.amdhsa_dx10_clamp 1
		.amdhsa_ieee_mode 1
		.amdhsa_fp16_overflow 0
		.amdhsa_exception_fp_ieee_invalid_op 0
		.amdhsa_exception_fp_denorm_src 0
		.amdhsa_exception_fp_ieee_div_zero 0
		.amdhsa_exception_fp_ieee_overflow 0
		.amdhsa_exception_fp_ieee_underflow 0
		.amdhsa_exception_fp_ieee_inexact 0
		.amdhsa_exception_int_div_zero 0
	.end_amdhsa_kernel
	.section	.text._ZN9rocsparseL23coomvn_aos_atomic_loopsILj256ELj1El21rocsparse_complex_numIfES2_S2_S2_EEvlNS_24const_host_device_scalarIT5_EEPKT1_PKT2_PKT3_PT4_21rocsparse_index_base_b,"axG",@progbits,_ZN9rocsparseL23coomvn_aos_atomic_loopsILj256ELj1El21rocsparse_complex_numIfES2_S2_S2_EEvlNS_24const_host_device_scalarIT5_EEPKT1_PKT2_PKT3_PT4_21rocsparse_index_base_b,comdat
.Lfunc_end20:
	.size	_ZN9rocsparseL23coomvn_aos_atomic_loopsILj256ELj1El21rocsparse_complex_numIfES2_S2_S2_EEvlNS_24const_host_device_scalarIT5_EEPKT1_PKT2_PKT3_PT4_21rocsparse_index_base_b, .Lfunc_end20-_ZN9rocsparseL23coomvn_aos_atomic_loopsILj256ELj1El21rocsparse_complex_numIfES2_S2_S2_EEvlNS_24const_host_device_scalarIT5_EEPKT1_PKT2_PKT3_PT4_21rocsparse_index_base_b
                                        ; -- End function
	.set _ZN9rocsparseL23coomvn_aos_atomic_loopsILj256ELj1El21rocsparse_complex_numIfES2_S2_S2_EEvlNS_24const_host_device_scalarIT5_EEPKT1_PKT2_PKT3_PT4_21rocsparse_index_base_b.num_vgpr, 12
	.set _ZN9rocsparseL23coomvn_aos_atomic_loopsILj256ELj1El21rocsparse_complex_numIfES2_S2_S2_EEvlNS_24const_host_device_scalarIT5_EEPKT1_PKT2_PKT3_PT4_21rocsparse_index_base_b.num_agpr, 0
	.set _ZN9rocsparseL23coomvn_aos_atomic_loopsILj256ELj1El21rocsparse_complex_numIfES2_S2_S2_EEvlNS_24const_host_device_scalarIT5_EEPKT1_PKT2_PKT3_PT4_21rocsparse_index_base_b.numbered_sgpr, 12
	.set _ZN9rocsparseL23coomvn_aos_atomic_loopsILj256ELj1El21rocsparse_complex_numIfES2_S2_S2_EEvlNS_24const_host_device_scalarIT5_EEPKT1_PKT2_PKT3_PT4_21rocsparse_index_base_b.num_named_barrier, 0
	.set _ZN9rocsparseL23coomvn_aos_atomic_loopsILj256ELj1El21rocsparse_complex_numIfES2_S2_S2_EEvlNS_24const_host_device_scalarIT5_EEPKT1_PKT2_PKT3_PT4_21rocsparse_index_base_b.private_seg_size, 0
	.set _ZN9rocsparseL23coomvn_aos_atomic_loopsILj256ELj1El21rocsparse_complex_numIfES2_S2_S2_EEvlNS_24const_host_device_scalarIT5_EEPKT1_PKT2_PKT3_PT4_21rocsparse_index_base_b.uses_vcc, 1
	.set _ZN9rocsparseL23coomvn_aos_atomic_loopsILj256ELj1El21rocsparse_complex_numIfES2_S2_S2_EEvlNS_24const_host_device_scalarIT5_EEPKT1_PKT2_PKT3_PT4_21rocsparse_index_base_b.uses_flat_scratch, 0
	.set _ZN9rocsparseL23coomvn_aos_atomic_loopsILj256ELj1El21rocsparse_complex_numIfES2_S2_S2_EEvlNS_24const_host_device_scalarIT5_EEPKT1_PKT2_PKT3_PT4_21rocsparse_index_base_b.has_dyn_sized_stack, 0
	.set _ZN9rocsparseL23coomvn_aos_atomic_loopsILj256ELj1El21rocsparse_complex_numIfES2_S2_S2_EEvlNS_24const_host_device_scalarIT5_EEPKT1_PKT2_PKT3_PT4_21rocsparse_index_base_b.has_recursion, 0
	.set _ZN9rocsparseL23coomvn_aos_atomic_loopsILj256ELj1El21rocsparse_complex_numIfES2_S2_S2_EEvlNS_24const_host_device_scalarIT5_EEPKT1_PKT2_PKT3_PT4_21rocsparse_index_base_b.has_indirect_call, 0
	.section	.AMDGPU.csdata,"",@progbits
; Kernel info:
; codeLenInByte = 1464
; TotalNumSgprs: 16
; NumVgprs: 12
; ScratchSize: 0
; MemoryBound: 0
; FloatMode: 240
; IeeeMode: 1
; LDSByteSize: 4096 bytes/workgroup (compile time only)
; SGPRBlocks: 1
; VGPRBlocks: 2
; NumSGPRsForWavesPerEU: 16
; NumVGPRsForWavesPerEU: 12
; Occupancy: 10
; WaveLimiterHint : 1
; COMPUTE_PGM_RSRC2:SCRATCH_EN: 0
; COMPUTE_PGM_RSRC2:USER_SGPR: 6
; COMPUTE_PGM_RSRC2:TRAP_HANDLER: 0
; COMPUTE_PGM_RSRC2:TGID_X_EN: 1
; COMPUTE_PGM_RSRC2:TGID_Y_EN: 0
; COMPUTE_PGM_RSRC2:TGID_Z_EN: 0
; COMPUTE_PGM_RSRC2:TIDIG_COMP_CNT: 0
	.section	.text._ZN9rocsparseL17coomvt_aos_kernelILj1024El21rocsparse_complex_numIfES2_S2_S2_EEv20rocsparse_operation_lNS_24const_host_device_scalarIT4_EEPKT0_PKT1_PKT2_PT3_21rocsparse_index_base_b,"axG",@progbits,_ZN9rocsparseL17coomvt_aos_kernelILj1024El21rocsparse_complex_numIfES2_S2_S2_EEv20rocsparse_operation_lNS_24const_host_device_scalarIT4_EEPKT0_PKT1_PKT2_PT3_21rocsparse_index_base_b,comdat
	.globl	_ZN9rocsparseL17coomvt_aos_kernelILj1024El21rocsparse_complex_numIfES2_S2_S2_EEv20rocsparse_operation_lNS_24const_host_device_scalarIT4_EEPKT0_PKT1_PKT2_PT3_21rocsparse_index_base_b ; -- Begin function _ZN9rocsparseL17coomvt_aos_kernelILj1024El21rocsparse_complex_numIfES2_S2_S2_EEv20rocsparse_operation_lNS_24const_host_device_scalarIT4_EEPKT0_PKT1_PKT2_PT3_21rocsparse_index_base_b
	.p2align	8
	.type	_ZN9rocsparseL17coomvt_aos_kernelILj1024El21rocsparse_complex_numIfES2_S2_S2_EEv20rocsparse_operation_lNS_24const_host_device_scalarIT4_EEPKT0_PKT1_PKT2_PT3_21rocsparse_index_base_b,@function
_ZN9rocsparseL17coomvt_aos_kernelILj1024El21rocsparse_complex_numIfES2_S2_S2_EEv20rocsparse_operation_lNS_24const_host_device_scalarIT4_EEPKT0_PKT1_PKT2_PT3_21rocsparse_index_base_b: ; @_ZN9rocsparseL17coomvt_aos_kernelILj1024El21rocsparse_complex_numIfES2_S2_S2_EEv20rocsparse_operation_lNS_24const_host_device_scalarIT4_EEPKT0_PKT1_PKT2_PT3_21rocsparse_index_base_b
; %bb.0:
	s_load_dwordx2 s[2:3], s[4:5], 0x38
	s_load_dwordx4 s[8:11], s[4:5], 0x8
	s_add_u32 s0, s4, 16
	s_addc_u32 s1, s5, 0
	s_waitcnt lgkmcnt(0)
	s_bitcmp1_b32 s3, 0
	s_cselect_b32 s1, s1, s11
	s_cselect_b32 s0, s0, s10
	v_mov_b32_e32 v1, s0
	v_mov_b32_e32 v2, s1
	flat_load_dwordx2 v[1:2], v[1:2]
	s_waitcnt vmcnt(0) lgkmcnt(0)
	v_cmp_neq_f32_e32 vcc, 0, v1
	v_cmp_neq_f32_e64 s[0:1], 0, v2
	s_or_b64 s[0:1], vcc, s[0:1]
	s_and_saveexec_b64 s[10:11], s[0:1]
	s_cbranch_execz .LBB21_6
; %bb.1:
	s_load_dword s0, s[4:5], 0x4c
	v_mov_b32_e32 v4, 0
	s_waitcnt lgkmcnt(0)
	s_and_b32 s0, s0, 0xffff
	s_mul_i32 s6, s6, s0
	v_add_u32_e32 v3, s6, v0
	v_cmp_gt_i64_e32 vcc, s[8:9], v[3:4]
	s_and_b64 exec, exec, vcc
	s_cbranch_execz .LBB21_6
; %bb.2:
	s_load_dwordx8 s[8:15], s[4:5], 0x18
	v_lshlrev_b64 v[5:6], 4, v[3:4]
	v_lshlrev_b64 v[3:4], 3, v[3:4]
	s_load_dword s0, s[4:5], 0x0
	s_waitcnt lgkmcnt(0)
	v_mov_b32_e32 v0, s9
	v_add_co_u32_e32 v5, vcc, s8, v5
	v_addc_co_u32_e32 v6, vcc, v0, v6, vcc
	global_load_dwordx4 v[5:8], v[5:6], off
	v_mov_b32_e32 v0, s11
	v_add_co_u32_e32 v3, vcc, s10, v3
	v_addc_co_u32_e32 v4, vcc, v0, v4, vcc
	global_load_dwordx2 v[10:11], v[3:4], off
	v_mov_b32_e32 v12, s13
	v_mov_b32_e32 v9, s15
	s_cmpk_eq_i32 s0, 0x71
	s_cselect_b64 s[0:1], -1, 0
	s_waitcnt vmcnt(1)
	v_subrev_co_u32_e32 v3, vcc, s2, v5
	v_subbrev_co_u32_e32 v4, vcc, 0, v6, vcc
	v_subrev_co_u32_e32 v5, vcc, s2, v7
	v_lshlrev_b64 v[3:4], 3, v[3:4]
	v_subbrev_co_u32_e32 v6, vcc, 0, v8, vcc
	v_lshlrev_b64 v[7:8], 3, v[5:6]
	v_add_co_u32_e32 v3, vcc, s12, v3
	v_addc_co_u32_e32 v4, vcc, v12, v4, vcc
	global_load_dwordx2 v[5:6], v[3:4], off
	v_add_co_u32_e32 v3, vcc, s14, v7
	v_addc_co_u32_e32 v4, vcc, v9, v8, vcc
	global_load_dword v8, v[3:4], off
	s_waitcnt vmcnt(2)
	v_cndmask_b32_e64 v7, v11, -v11, s[0:1]
	v_mul_f32_e32 v9, v1, v7
	v_mul_f32_e64 v0, v7, -v2
	v_fmac_f32_e32 v9, v2, v10
	v_fmac_f32_e32 v0, v1, v10
	s_mov_b64 s[0:1], 0
	s_waitcnt vmcnt(1)
	v_mul_f32_e64 v1, v6, -v9
	v_fmac_f32_e32 v1, v0, v5
.LBB21_3:                               ; =>This Inner Loop Header: Depth=1
	s_waitcnt vmcnt(0)
	v_add_f32_e32 v7, v8, v1
	global_atomic_cmpswap v2, v[3:4], v[7:8], off glc
	s_waitcnt vmcnt(0)
	v_cmp_eq_u32_e32 vcc, v2, v8
	s_or_b64 s[0:1], vcc, s[0:1]
	v_mov_b32_e32 v8, v2
	s_andn2_b64 exec, exec, s[0:1]
	s_cbranch_execnz .LBB21_3
; %bb.4:
	s_or_b64 exec, exec, s[0:1]
	global_load_dword v1, v[3:4], off offset:4
	v_mul_f32_e32 v2, v0, v6
	v_fmac_f32_e32 v2, v9, v5
	s_mov_b64 s[0:1], 0
.LBB21_5:                               ; =>This Inner Loop Header: Depth=1
	s_waitcnt vmcnt(0)
	v_add_f32_e32 v0, v1, v2
	global_atomic_cmpswap v0, v[3:4], v[0:1], off offset:4 glc
	s_waitcnt vmcnt(0)
	v_cmp_eq_u32_e32 vcc, v0, v1
	s_or_b64 s[0:1], vcc, s[0:1]
	v_mov_b32_e32 v1, v0
	s_andn2_b64 exec, exec, s[0:1]
	s_cbranch_execnz .LBB21_5
.LBB21_6:
	s_endpgm
	.section	.rodata,"a",@progbits
	.p2align	6, 0x0
	.amdhsa_kernel _ZN9rocsparseL17coomvt_aos_kernelILj1024El21rocsparse_complex_numIfES2_S2_S2_EEv20rocsparse_operation_lNS_24const_host_device_scalarIT4_EEPKT0_PKT1_PKT2_PT3_21rocsparse_index_base_b
		.amdhsa_group_segment_fixed_size 0
		.amdhsa_private_segment_fixed_size 0
		.amdhsa_kernarg_size 320
		.amdhsa_user_sgpr_count 6
		.amdhsa_user_sgpr_private_segment_buffer 1
		.amdhsa_user_sgpr_dispatch_ptr 0
		.amdhsa_user_sgpr_queue_ptr 0
		.amdhsa_user_sgpr_kernarg_segment_ptr 1
		.amdhsa_user_sgpr_dispatch_id 0
		.amdhsa_user_sgpr_flat_scratch_init 0
		.amdhsa_user_sgpr_private_segment_size 0
		.amdhsa_uses_dynamic_stack 0
		.amdhsa_system_sgpr_private_segment_wavefront_offset 0
		.amdhsa_system_sgpr_workgroup_id_x 1
		.amdhsa_system_sgpr_workgroup_id_y 0
		.amdhsa_system_sgpr_workgroup_id_z 0
		.amdhsa_system_sgpr_workgroup_info 0
		.amdhsa_system_vgpr_workitem_id 0
		.amdhsa_next_free_vgpr 13
		.amdhsa_next_free_sgpr 16
		.amdhsa_reserve_vcc 1
		.amdhsa_reserve_flat_scratch 0
		.amdhsa_float_round_mode_32 0
		.amdhsa_float_round_mode_16_64 0
		.amdhsa_float_denorm_mode_32 3
		.amdhsa_float_denorm_mode_16_64 3
		.amdhsa_dx10_clamp 1
		.amdhsa_ieee_mode 1
		.amdhsa_fp16_overflow 0
		.amdhsa_exception_fp_ieee_invalid_op 0
		.amdhsa_exception_fp_denorm_src 0
		.amdhsa_exception_fp_ieee_div_zero 0
		.amdhsa_exception_fp_ieee_overflow 0
		.amdhsa_exception_fp_ieee_underflow 0
		.amdhsa_exception_fp_ieee_inexact 0
		.amdhsa_exception_int_div_zero 0
	.end_amdhsa_kernel
	.section	.text._ZN9rocsparseL17coomvt_aos_kernelILj1024El21rocsparse_complex_numIfES2_S2_S2_EEv20rocsparse_operation_lNS_24const_host_device_scalarIT4_EEPKT0_PKT1_PKT2_PT3_21rocsparse_index_base_b,"axG",@progbits,_ZN9rocsparseL17coomvt_aos_kernelILj1024El21rocsparse_complex_numIfES2_S2_S2_EEv20rocsparse_operation_lNS_24const_host_device_scalarIT4_EEPKT0_PKT1_PKT2_PT3_21rocsparse_index_base_b,comdat
.Lfunc_end21:
	.size	_ZN9rocsparseL17coomvt_aos_kernelILj1024El21rocsparse_complex_numIfES2_S2_S2_EEv20rocsparse_operation_lNS_24const_host_device_scalarIT4_EEPKT0_PKT1_PKT2_PT3_21rocsparse_index_base_b, .Lfunc_end21-_ZN9rocsparseL17coomvt_aos_kernelILj1024El21rocsparse_complex_numIfES2_S2_S2_EEv20rocsparse_operation_lNS_24const_host_device_scalarIT4_EEPKT0_PKT1_PKT2_PT3_21rocsparse_index_base_b
                                        ; -- End function
	.set _ZN9rocsparseL17coomvt_aos_kernelILj1024El21rocsparse_complex_numIfES2_S2_S2_EEv20rocsparse_operation_lNS_24const_host_device_scalarIT4_EEPKT0_PKT1_PKT2_PT3_21rocsparse_index_base_b.num_vgpr, 13
	.set _ZN9rocsparseL17coomvt_aos_kernelILj1024El21rocsparse_complex_numIfES2_S2_S2_EEv20rocsparse_operation_lNS_24const_host_device_scalarIT4_EEPKT0_PKT1_PKT2_PT3_21rocsparse_index_base_b.num_agpr, 0
	.set _ZN9rocsparseL17coomvt_aos_kernelILj1024El21rocsparse_complex_numIfES2_S2_S2_EEv20rocsparse_operation_lNS_24const_host_device_scalarIT4_EEPKT0_PKT1_PKT2_PT3_21rocsparse_index_base_b.numbered_sgpr, 16
	.set _ZN9rocsparseL17coomvt_aos_kernelILj1024El21rocsparse_complex_numIfES2_S2_S2_EEv20rocsparse_operation_lNS_24const_host_device_scalarIT4_EEPKT0_PKT1_PKT2_PT3_21rocsparse_index_base_b.num_named_barrier, 0
	.set _ZN9rocsparseL17coomvt_aos_kernelILj1024El21rocsparse_complex_numIfES2_S2_S2_EEv20rocsparse_operation_lNS_24const_host_device_scalarIT4_EEPKT0_PKT1_PKT2_PT3_21rocsparse_index_base_b.private_seg_size, 0
	.set _ZN9rocsparseL17coomvt_aos_kernelILj1024El21rocsparse_complex_numIfES2_S2_S2_EEv20rocsparse_operation_lNS_24const_host_device_scalarIT4_EEPKT0_PKT1_PKT2_PT3_21rocsparse_index_base_b.uses_vcc, 1
	.set _ZN9rocsparseL17coomvt_aos_kernelILj1024El21rocsparse_complex_numIfES2_S2_S2_EEv20rocsparse_operation_lNS_24const_host_device_scalarIT4_EEPKT0_PKT1_PKT2_PT3_21rocsparse_index_base_b.uses_flat_scratch, 0
	.set _ZN9rocsparseL17coomvt_aos_kernelILj1024El21rocsparse_complex_numIfES2_S2_S2_EEv20rocsparse_operation_lNS_24const_host_device_scalarIT4_EEPKT0_PKT1_PKT2_PT3_21rocsparse_index_base_b.has_dyn_sized_stack, 0
	.set _ZN9rocsparseL17coomvt_aos_kernelILj1024El21rocsparse_complex_numIfES2_S2_S2_EEv20rocsparse_operation_lNS_24const_host_device_scalarIT4_EEPKT0_PKT1_PKT2_PT3_21rocsparse_index_base_b.has_recursion, 0
	.set _ZN9rocsparseL17coomvt_aos_kernelILj1024El21rocsparse_complex_numIfES2_S2_S2_EEv20rocsparse_operation_lNS_24const_host_device_scalarIT4_EEPKT0_PKT1_PKT2_PT3_21rocsparse_index_base_b.has_indirect_call, 0
	.section	.AMDGPU.csdata,"",@progbits
; Kernel info:
; codeLenInByte = 448
; TotalNumSgprs: 20
; NumVgprs: 13
; ScratchSize: 0
; MemoryBound: 0
; FloatMode: 240
; IeeeMode: 1
; LDSByteSize: 0 bytes/workgroup (compile time only)
; SGPRBlocks: 2
; VGPRBlocks: 3
; NumSGPRsForWavesPerEU: 20
; NumVGPRsForWavesPerEU: 13
; Occupancy: 10
; WaveLimiterHint : 1
; COMPUTE_PGM_RSRC2:SCRATCH_EN: 0
; COMPUTE_PGM_RSRC2:USER_SGPR: 6
; COMPUTE_PGM_RSRC2:TRAP_HANDLER: 0
; COMPUTE_PGM_RSRC2:TGID_X_EN: 1
; COMPUTE_PGM_RSRC2:TGID_Y_EN: 0
; COMPUTE_PGM_RSRC2:TGID_Z_EN: 0
; COMPUTE_PGM_RSRC2:TIDIG_COMP_CNT: 0
	.section	.text._ZN9rocsparseL26coomvn_aos_segmented_loopsILj256El21rocsparse_complex_numIfES2_S2_S2_EEvlT0_NS_24const_host_device_scalarIT4_EEPKS3_PKT1_PKT2_PT3_PS3_PS5_21rocsparse_index_base_b,"axG",@progbits,_ZN9rocsparseL26coomvn_aos_segmented_loopsILj256El21rocsparse_complex_numIfES2_S2_S2_EEvlT0_NS_24const_host_device_scalarIT4_EEPKS3_PKT1_PKT2_PT3_PS3_PS5_21rocsparse_index_base_b,comdat
	.globl	_ZN9rocsparseL26coomvn_aos_segmented_loopsILj256El21rocsparse_complex_numIfES2_S2_S2_EEvlT0_NS_24const_host_device_scalarIT4_EEPKS3_PKT1_PKT2_PT3_PS3_PS5_21rocsparse_index_base_b ; -- Begin function _ZN9rocsparseL26coomvn_aos_segmented_loopsILj256El21rocsparse_complex_numIfES2_S2_S2_EEvlT0_NS_24const_host_device_scalarIT4_EEPKS3_PKT1_PKT2_PT3_PS3_PS5_21rocsparse_index_base_b
	.p2align	8
	.type	_ZN9rocsparseL26coomvn_aos_segmented_loopsILj256El21rocsparse_complex_numIfES2_S2_S2_EEvlT0_NS_24const_host_device_scalarIT4_EEPKS3_PKT1_PKT2_PT3_PS3_PS5_21rocsparse_index_base_b,@function
_ZN9rocsparseL26coomvn_aos_segmented_loopsILj256El21rocsparse_complex_numIfES2_S2_S2_EEvlT0_NS_24const_host_device_scalarIT4_EEPKS3_PKT1_PKT2_PT3_PS3_PS5_21rocsparse_index_base_b: ; @_ZN9rocsparseL26coomvn_aos_segmented_loopsILj256El21rocsparse_complex_numIfES2_S2_S2_EEvlT0_NS_24const_host_device_scalarIT4_EEPKS3_PKT1_PKT2_PT3_PS3_PS5_21rocsparse_index_base_b
; %bb.0:
	s_load_dwordx2 s[34:35], s[4:5], 0x48
	s_load_dwordx2 s[0:1], s[4:5], 0x10
	s_add_u32 s2, s4, 16
	s_addc_u32 s3, s5, 0
	s_mov_b32 s7, 0
	s_waitcnt lgkmcnt(0)
	s_bitcmp1_b32 s35, 0
	s_cselect_b32 s1, s3, s1
	s_cselect_b32 s0, s2, s0
	v_mov_b32_e32 v1, s0
	v_mov_b32_e32 v2, s1
	flat_load_dwordx2 v[1:2], v[1:2]
	s_waitcnt vmcnt(0) lgkmcnt(0)
	v_cmp_neq_f32_e32 vcc, 0, v1
	v_cmp_neq_f32_e64 s[0:1], 0, v2
	s_or_b64 s[0:1], vcc, s[0:1]
	s_and_saveexec_b64 s[2:3], s[0:1]
	s_cbranch_execz .LBB22_87
; %bb.1:
	s_load_dwordx4 s[28:31], s[4:5], 0x0
	s_load_dwordx4 s[36:39], s[4:5], 0x18
	s_load_dwordx2 s[44:45], s[4:5], 0x28
	v_mov_b32_e32 v5, 0
	v_mov_b32_e32 v3, -1
	s_waitcnt lgkmcnt(0)
	s_mul_i32 s1, s6, s31
	s_mul_hi_u32 s2, s6, s30
	s_mul_i32 s0, s6, s30
	s_add_i32 s1, s2, s1
	s_lshl_b64 s[0:1], s[0:1], 8
	v_or_b32_e32 v8, s0, v0
	v_mov_b32_e32 v9, s1
	v_cmp_gt_i64_e32 vcc, s[28:29], v[8:9]
	v_mov_b32_e32 v4, -1
	v_mov_b32_e32 v6, v5
	s_and_saveexec_b64 s[0:1], vcc
	s_cbranch_execz .LBB22_3
; %bb.2:
	v_lshlrev_b64 v[3:4], 4, v[8:9]
	v_mov_b32_e32 v5, s37
	v_add_co_u32_e32 v3, vcc, s36, v3
	v_addc_co_u32_e32 v4, vcc, v5, v4, vcc
	global_load_dwordx4 v[3:6], v[3:4], off glc slc
	v_lshlrev_b64 v[10:11], 3, v[8:9]
	v_mov_b32_e32 v7, s39
	v_add_co_u32_e32 v10, vcc, s38, v10
	v_addc_co_u32_e32 v11, vcc, v7, v11, vcc
	v_mov_b32_e32 v12, s45
	s_ashr_i32 s35, s34, 31
	s_lshl_b64 s[2:3], s[34:35], 3
	v_mov_b32_e32 v7, s3
	global_load_dwordx2 v[10:11], v[10:11], off glc slc
	s_waitcnt vmcnt(1)
	v_lshlrev_b64 v[5:6], 3, v[5:6]
	v_add_co_u32_e32 v5, vcc, s44, v5
	v_addc_co_u32_e32 v6, vcc, v12, v6, vcc
	v_subrev_co_u32_e32 v5, vcc, s2, v5
	v_subb_co_u32_e32 v6, vcc, v6, v7, vcc
	global_load_dwordx2 v[12:13], v[5:6], off
	v_subrev_co_u32_e32 v3, vcc, s34, v3
	v_subbrev_co_u32_e32 v4, vcc, 0, v4, vcc
	s_waitcnt vmcnt(0)
	v_mul_f32_e64 v5, v13, -v11
	v_mul_f32_e32 v6, v10, v13
	v_fmac_f32_e32 v5, v10, v12
	v_fmac_f32_e32 v6, v11, v12
.LBB22_3:
	s_or_b64 exec, exec, s[0:1]
	v_lshlrev_b32_e32 v16, 3, v0
	v_or_b32_e32 v17, 0x800, v16
	v_cmp_eq_u32_e64 s[0:1], 0, v0
	v_cmp_ne_u32_e64 s[2:3], 0, v0
	v_add_u32_e32 v18, -8, v16
	ds_write2st64_b64 v16, v[3:4], v[5:6] offset1:4
	s_waitcnt lgkmcnt(0)
	s_barrier
	s_and_saveexec_b64 s[8:9], s[2:3]
	s_cbranch_execz .LBB22_7
; %bb.4:
	ds_read_b64 v[10:11], v18
	s_waitcnt lgkmcnt(0)
	v_cmp_eq_u64_e32 vcc, v[3:4], v[10:11]
	s_and_saveexec_b64 s[10:11], vcc
	s_cbranch_execz .LBB22_6
; %bb.5:
	v_add_u32_e32 v7, -8, v17
	ds_read_b64 v[10:11], v7
	s_waitcnt lgkmcnt(0)
	v_add_f32_e32 v5, v5, v10
	v_add_f32_e32 v6, v6, v11
.LBB22_6:
	s_or_b64 exec, exec, s[10:11]
.LBB22_7:
	s_or_b64 exec, exec, s[8:9]
	v_cmp_lt_u32_e64 s[22:23], 1, v0
	v_add_u32_e32 v19, -16, v16
	s_barrier
	ds_write_b64 v17, v[5:6]
	s_waitcnt lgkmcnt(0)
	s_barrier
	s_and_saveexec_b64 s[8:9], s[22:23]
	s_cbranch_execz .LBB22_11
; %bb.8:
	ds_read_b64 v[10:11], v19
	s_waitcnt lgkmcnt(0)
	v_cmp_eq_u64_e32 vcc, v[3:4], v[10:11]
	s_and_saveexec_b64 s[10:11], vcc
	s_cbranch_execz .LBB22_10
; %bb.9:
	v_add_u32_e32 v7, -16, v17
	ds_read_b64 v[10:11], v7
	s_waitcnt lgkmcnt(0)
	v_add_f32_e32 v5, v5, v10
	v_add_f32_e32 v6, v6, v11
.LBB22_10:
	s_or_b64 exec, exec, s[10:11]
.LBB22_11:
	s_or_b64 exec, exec, s[8:9]
	v_cmp_lt_u32_e64 s[8:9], 3, v0
	v_subrev_u32_e32 v20, 32, v16
	s_barrier
	ds_write_b64 v17, v[5:6]
	s_waitcnt lgkmcnt(0)
	s_barrier
	s_and_saveexec_b64 s[10:11], s[8:9]
	s_cbranch_execz .LBB22_15
; %bb.12:
	ds_read_b64 v[10:11], v20
	s_waitcnt lgkmcnt(0)
	v_cmp_eq_u64_e32 vcc, v[3:4], v[10:11]
	s_and_saveexec_b64 s[12:13], vcc
	s_cbranch_execz .LBB22_14
; %bb.13:
	v_subrev_u32_e32 v7, 32, v17
	ds_read_b64 v[10:11], v7
	s_waitcnt lgkmcnt(0)
	v_add_f32_e32 v5, v5, v10
	v_add_f32_e32 v6, v6, v11
.LBB22_14:
	s_or_b64 exec, exec, s[12:13]
.LBB22_15:
	s_or_b64 exec, exec, s[10:11]
	v_cmp_lt_u32_e64 s[10:11], 7, v0
	v_subrev_u32_e32 v21, 64, v16
	s_barrier
	ds_write_b64 v17, v[5:6]
	s_waitcnt lgkmcnt(0)
	s_barrier
	s_and_saveexec_b64 s[12:13], s[10:11]
	s_cbranch_execz .LBB22_19
; %bb.16:
	ds_read_b64 v[10:11], v21
	s_waitcnt lgkmcnt(0)
	v_cmp_eq_u64_e32 vcc, v[3:4], v[10:11]
	s_and_saveexec_b64 s[14:15], vcc
	s_cbranch_execz .LBB22_18
; %bb.17:
	v_subrev_u32_e32 v7, 64, v17
	ds_read_b64 v[10:11], v7
	s_waitcnt lgkmcnt(0)
	v_add_f32_e32 v5, v5, v10
	v_add_f32_e32 v6, v6, v11
.LBB22_18:
	s_or_b64 exec, exec, s[14:15]
.LBB22_19:
	s_or_b64 exec, exec, s[12:13]
	v_cmp_lt_u32_e64 s[12:13], 15, v0
	s_barrier
	ds_write_b64 v17, v[5:6]
	s_waitcnt lgkmcnt(0)
	s_barrier
	s_and_saveexec_b64 s[14:15], s[12:13]
	s_cbranch_execz .LBB22_23
; %bb.20:
	v_add_u32_e32 v7, 0xffffff80, v16
	ds_read_b64 v[10:11], v7
	s_waitcnt lgkmcnt(0)
	v_cmp_eq_u64_e32 vcc, v[3:4], v[10:11]
	s_and_saveexec_b64 s[16:17], vcc
	s_cbranch_execz .LBB22_22
; %bb.21:
	v_add_u32_e32 v7, 0xffffff80, v17
	ds_read_b64 v[10:11], v7
	s_waitcnt lgkmcnt(0)
	v_add_f32_e32 v5, v5, v10
	v_add_f32_e32 v6, v6, v11
.LBB22_22:
	s_or_b64 exec, exec, s[16:17]
.LBB22_23:
	s_or_b64 exec, exec, s[14:15]
	v_cmp_lt_u32_e64 s[14:15], 31, v0
	s_barrier
	ds_write_b64 v17, v[5:6]
	s_waitcnt lgkmcnt(0)
	s_barrier
	s_and_saveexec_b64 s[16:17], s[14:15]
	s_cbranch_execz .LBB22_27
; %bb.24:
	v_add_u32_e32 v7, 0xffffff00, v16
	ds_read_b64 v[10:11], v7
	s_waitcnt lgkmcnt(0)
	v_cmp_eq_u64_e32 vcc, v[3:4], v[10:11]
	s_and_saveexec_b64 s[18:19], vcc
	s_cbranch_execz .LBB22_26
; %bb.25:
	v_add_u32_e32 v7, 0xffffff00, v17
	ds_read_b64 v[10:11], v7
	s_waitcnt lgkmcnt(0)
	v_add_f32_e32 v5, v5, v10
	v_add_f32_e32 v6, v6, v11
.LBB22_26:
	s_or_b64 exec, exec, s[18:19]
.LBB22_27:
	;; [unrolled: 24-line block ×3, first 2 shown]
	s_or_b64 exec, exec, s[18:19]
	s_load_dwordx2 s[40:41], s[4:5], 0x30
	s_movk_i32 s18, 0x7f
	v_cmp_lt_u32_e64 s[18:19], s18, v0
	s_waitcnt lgkmcnt(0)
	s_barrier
	ds_write_b64 v17, v[5:6]
	s_waitcnt lgkmcnt(0)
	s_barrier
	s_and_saveexec_b64 s[20:21], s[18:19]
	s_cbranch_execz .LBB22_35
; %bb.32:
	v_add_u32_e32 v7, 0xfffffc00, v16
	ds_read_b64 v[10:11], v7
	s_waitcnt lgkmcnt(0)
	v_cmp_eq_u64_e32 vcc, v[3:4], v[10:11]
	s_and_saveexec_b64 s[24:25], vcc
	s_cbranch_execz .LBB22_34
; %bb.33:
	v_add_u32_e32 v7, 0xfffffc00, v17
	ds_read_b64 v[10:11], v7
	s_waitcnt lgkmcnt(0)
	v_add_f32_e32 v5, v5, v10
	v_add_f32_e32 v6, v6, v11
.LBB22_34:
	s_or_b64 exec, exec, s[24:25]
.LBB22_35:
	s_or_b64 exec, exec, s[20:21]
	s_movk_i32 s20, 0xff
	v_cmp_gt_u32_e64 s[20:21], s20, v0
	s_barrier
	ds_write_b64 v17, v[5:6]
	s_waitcnt lgkmcnt(0)
	s_barrier
	s_and_saveexec_b64 s[26:27], s[20:21]
	s_cbranch_execz .LBB22_38
; %bb.36:
	ds_read_b64 v[10:11], v16 offset:8
	v_cmp_lt_i64_e64 s[24:25], -1, v[3:4]
	s_waitcnt lgkmcnt(0)
	v_cmp_ne_u64_e32 vcc, v[3:4], v[10:11]
	s_and_b64 s[24:25], s[24:25], vcc
	s_and_b64 exec, exec, s[24:25]
	s_cbranch_execz .LBB22_38
; %bb.37:
	v_lshlrev_b64 v[10:11], 3, v[3:4]
	v_mov_b32_e32 v7, s41
	v_add_co_u32_e32 v10, vcc, s40, v10
	v_addc_co_u32_e32 v11, vcc, v7, v11, vcc
	global_load_dwordx2 v[12:13], v[10:11], off
	s_waitcnt vmcnt(0)
	v_fma_f32 v7, v1, v5, v12
	v_fmac_f32_e32 v13, v2, v5
	v_fma_f32 v12, -v2, v6, v7
	v_fmac_f32_e32 v13, v1, v6
	global_store_dwordx2 v[10:11], v[12:13], off
.LBB22_38:
	s_or_b64 exec, exec, s[26:27]
	s_load_dwordx4 s[24:27], s[4:5], 0x38
	v_cmp_lt_i64_e64 s[4:5], s[30:31], 2
	s_and_b64 vcc, exec, s[4:5]
	s_cbranch_vccnz .LBB22_85
; %bb.39:
	s_add_u32 s42, s30, -1
	s_addc_u32 s43, s31, -1
	s_ashr_i32 s35, s34, 31
	s_lshl_b64 s[4:5], s[34:35], 3
	s_sub_u32 s33, s44, s4
	s_subb_u32 s35, s45, s5
	s_mul_i32 s4, s31, s6
	s_mul_hi_u32 s5, s30, s6
	s_add_i32 s5, s5, s4
	s_mul_i32 s4, s30, s6
	s_lshl_b64 s[30:31], s[4:5], 11
	s_add_u32 s30, s38, s30
	s_addc_u32 s31, s39, s31
	s_lshl_b64 s[4:5], s[4:5], 12
	s_add_u32 s4, s36, s4
	v_lshlrev_b32_e32 v4, 4, v0
	s_addc_u32 s5, s37, s5
	v_mov_b32_e32 v5, s5
	v_add_co_u32_e32 v4, vcc, s4, v4
	v_addc_co_u32_e32 v5, vcc, 0, v5, vcc
	s_movk_i32 s4, 0x1008
	v_mov_b32_e32 v3, s31
	v_add_co_u32_e32 v7, vcc, s4, v4
	s_movk_i32 s31, 0x100
	s_mov_b64 s[4:5], vcc
	v_add_co_u32_e32 v10, vcc, s31, v8
	v_addc_co_u32_e32 v11, vcc, 0, v9, vcc
	v_add_co_u32_e32 v4, vcc, s30, v16
	v_addc_co_u32_e32 v3, vcc, 0, v3, vcc
	s_movk_i32 s30, 0x804
	v_add_co_u32_e32 v12, vcc, s30, v4
	v_subrev_u32_e32 v22, 64, v17
	v_add_u32_e32 v23, 0xffffff80, v16
	v_add_u32_e32 v24, 0xffffff80, v17
	;; [unrolled: 1-line block ×5, first 2 shown]
	v_addc_co_u32_e32 v13, vcc, 0, v3, vcc
	v_add_u32_e32 v9, 0xfffffe00, v17
	v_addc_co_u32_e64 v8, vcc, 0, v5, s[4:5]
	v_add_u32_e32 v28, 0xfffffc00, v16
	s_mov_b64 s[30:31], 0
	v_add_u32_e32 v29, 0xfffffc00, v17
	v_mov_b32_e32 v30, 0
	s_branch .LBB22_41
.LBB22_40:                              ;   in Loop: Header=BB22_41 Depth=1
	s_or_b64 exec, exec, s[36:37]
	v_add_co_u32_e32 v12, vcc, 0x800, v12
	v_addc_co_u32_e32 v13, vcc, 0, v13, vcc
	s_add_u32 s30, s30, 1
	v_add_co_u32_e32 v7, vcc, 0x1000, v7
	s_addc_u32 s31, s31, 0
	v_mov_b32_e32 v14, s30
	v_addc_co_u32_e32 v8, vcc, 0, v8, vcc
	v_mov_b32_e32 v15, s31
	v_add_co_u32_e32 v10, vcc, 0x100, v10
	v_cmp_le_u64_e64 s[4:5], s[42:43], v[14:15]
	v_addc_co_u32_e32 v11, vcc, 0, v11, vcc
	s_and_b64 vcc, exec, s[4:5]
	s_cbranch_vccnz .LBB22_85
.LBB22_41:                              ; =>This Inner Loop Header: Depth=1
	v_cmp_gt_i64_e32 vcc, s[28:29], v[10:11]
	v_mov_b32_e32 v3, -1
	v_mov_b32_e32 v4, -1
	v_mov_b32_e32 v5, 0
	v_mov_b32_e32 v6, 0
	s_and_saveexec_b64 s[4:5], vcc
	s_cbranch_execz .LBB22_43
; %bb.42:                               ;   in Loop: Header=BB22_41 Depth=1
	global_load_dwordx4 v[3:6], v[7:8], off offset:-8 glc slc
	global_load_dwordx2 v[14:15], v[12:13], off offset:-4 glc slc
	v_mov_b32_e32 v31, s35
	s_waitcnt vmcnt(1)
	v_lshlrev_b64 v[5:6], 3, v[5:6]
	v_add_co_u32_e32 v5, vcc, s33, v5
	v_addc_co_u32_e32 v6, vcc, v31, v6, vcc
	global_load_dwordx2 v[31:32], v[5:6], off
	v_subrev_co_u32_e32 v3, vcc, s34, v3
	v_subbrev_co_u32_e32 v4, vcc, 0, v4, vcc
	s_waitcnt vmcnt(0)
	v_mul_f32_e64 v5, v32, -v15
	v_mul_f32_e32 v6, v14, v32
	v_fmac_f32_e32 v5, v14, v31
	v_fmac_f32_e32 v6, v15, v31
.LBB22_43:                              ;   in Loop: Header=BB22_41 Depth=1
	s_or_b64 exec, exec, s[4:5]
	s_and_saveexec_b64 s[4:5], s[0:1]
	s_cbranch_execz .LBB22_50
; %bb.44:                               ;   in Loop: Header=BB22_41 Depth=1
	ds_read_b64 v[14:15], v30 offset:2040
	s_waitcnt lgkmcnt(0)
	v_cmp_ne_u64_e32 vcc, v[3:4], v[14:15]
	s_and_saveexec_b64 s[36:37], vcc
	s_xor_b64 s[36:37], exec, s[36:37]
	s_cbranch_execz .LBB22_47
; %bb.45:                               ;   in Loop: Header=BB22_41 Depth=1
	v_cmp_gt_i64_e32 vcc, 0, v[14:15]
	s_cbranch_vccnz .LBB22_47
; %bb.46:                               ;   in Loop: Header=BB22_41 Depth=1
	v_lshlrev_b64 v[14:15], 3, v[14:15]
	v_mov_b32_e32 v31, s41
	v_add_co_u32_e32 v14, vcc, s40, v14
	v_addc_co_u32_e32 v15, vcc, v31, v15, vcc
	global_load_dwordx2 v[31:32], v[14:15], off
	ds_read_b64 v[33:34], v30 offset:4088
	s_waitcnt vmcnt(0) lgkmcnt(0)
	v_fma_f32 v31, v1, v33, v31
	v_fmac_f32_e32 v32, v2, v33
	v_fma_f32 v31, -v2, v34, v31
	v_fmac_f32_e32 v32, v1, v34
	global_store_dwordx2 v[14:15], v[31:32], off
.LBB22_47:                              ;   in Loop: Header=BB22_41 Depth=1
	s_andn2_saveexec_b64 s[36:37], s[36:37]
	s_cbranch_execz .LBB22_49
; %bb.48:                               ;   in Loop: Header=BB22_41 Depth=1
	ds_read_b64 v[14:15], v30 offset:4088
	s_waitcnt lgkmcnt(0)
	v_add_f32_e32 v5, v5, v14
	v_add_f32_e32 v6, v6, v15
.LBB22_49:                              ;   in Loop: Header=BB22_41 Depth=1
	s_or_b64 exec, exec, s[36:37]
.LBB22_50:                              ;   in Loop: Header=BB22_41 Depth=1
	s_or_b64 exec, exec, s[4:5]
	s_waitcnt vmcnt(0) lgkmcnt(0)
	s_barrier
	ds_write_b64 v16, v[3:4]
	ds_write_b64 v17, v[5:6]
	s_waitcnt lgkmcnt(0)
	s_barrier
	s_and_saveexec_b64 s[4:5], s[2:3]
	s_cbranch_execz .LBB22_54
; %bb.51:                               ;   in Loop: Header=BB22_41 Depth=1
	ds_read_b64 v[14:15], v18
	s_waitcnt lgkmcnt(0)
	v_cmp_eq_u64_e32 vcc, v[3:4], v[14:15]
	s_and_saveexec_b64 s[36:37], vcc
	s_cbranch_execz .LBB22_53
; %bb.52:                               ;   in Loop: Header=BB22_41 Depth=1
	v_add_u32_e32 v14, -8, v17
	ds_read_b64 v[14:15], v14
	s_waitcnt lgkmcnt(0)
	v_add_f32_e32 v5, v5, v14
	v_add_f32_e32 v6, v6, v15
.LBB22_53:                              ;   in Loop: Header=BB22_41 Depth=1
	s_or_b64 exec, exec, s[36:37]
.LBB22_54:                              ;   in Loop: Header=BB22_41 Depth=1
	s_or_b64 exec, exec, s[4:5]
	s_barrier
	ds_write_b64 v17, v[5:6]
	s_waitcnt lgkmcnt(0)
	s_barrier
	s_and_saveexec_b64 s[4:5], s[22:23]
	s_cbranch_execz .LBB22_58
; %bb.55:                               ;   in Loop: Header=BB22_41 Depth=1
	ds_read_b64 v[14:15], v19
	s_waitcnt lgkmcnt(0)
	v_cmp_eq_u64_e32 vcc, v[3:4], v[14:15]
	s_and_saveexec_b64 s[36:37], vcc
	s_cbranch_execz .LBB22_57
; %bb.56:                               ;   in Loop: Header=BB22_41 Depth=1
	v_add_u32_e32 v14, -16, v17
	ds_read_b64 v[14:15], v14
	s_waitcnt lgkmcnt(0)
	v_add_f32_e32 v5, v5, v14
	v_add_f32_e32 v6, v6, v15
.LBB22_57:                              ;   in Loop: Header=BB22_41 Depth=1
	s_or_b64 exec, exec, s[36:37]
.LBB22_58:                              ;   in Loop: Header=BB22_41 Depth=1
	s_or_b64 exec, exec, s[4:5]
	s_barrier
	ds_write_b64 v17, v[5:6]
	s_waitcnt lgkmcnt(0)
	s_barrier
	s_and_saveexec_b64 s[4:5], s[8:9]
	s_cbranch_execz .LBB22_62
; %bb.59:                               ;   in Loop: Header=BB22_41 Depth=1
	ds_read_b64 v[14:15], v20
	s_waitcnt lgkmcnt(0)
	v_cmp_eq_u64_e32 vcc, v[3:4], v[14:15]
	s_and_saveexec_b64 s[36:37], vcc
	s_cbranch_execz .LBB22_61
; %bb.60:                               ;   in Loop: Header=BB22_41 Depth=1
	v_subrev_u32_e32 v14, 32, v17
	ds_read_b64 v[14:15], v14
	s_waitcnt lgkmcnt(0)
	v_add_f32_e32 v5, v5, v14
	v_add_f32_e32 v6, v6, v15
.LBB22_61:                              ;   in Loop: Header=BB22_41 Depth=1
	s_or_b64 exec, exec, s[36:37]
.LBB22_62:                              ;   in Loop: Header=BB22_41 Depth=1
	s_or_b64 exec, exec, s[4:5]
	s_barrier
	ds_write_b64 v17, v[5:6]
	s_waitcnt lgkmcnt(0)
	s_barrier
	s_and_saveexec_b64 s[4:5], s[10:11]
	s_cbranch_execz .LBB22_66
; %bb.63:                               ;   in Loop: Header=BB22_41 Depth=1
	ds_read_b64 v[14:15], v21
	s_waitcnt lgkmcnt(0)
	v_cmp_eq_u64_e32 vcc, v[3:4], v[14:15]
	s_and_saveexec_b64 s[36:37], vcc
	s_cbranch_execz .LBB22_65
; %bb.64:                               ;   in Loop: Header=BB22_41 Depth=1
	ds_read_b64 v[14:15], v22
	s_waitcnt lgkmcnt(0)
	v_add_f32_e32 v5, v5, v14
	v_add_f32_e32 v6, v6, v15
.LBB22_65:                              ;   in Loop: Header=BB22_41 Depth=1
	s_or_b64 exec, exec, s[36:37]
.LBB22_66:                              ;   in Loop: Header=BB22_41 Depth=1
	s_or_b64 exec, exec, s[4:5]
	s_barrier
	ds_write_b64 v17, v[5:6]
	s_waitcnt lgkmcnt(0)
	s_barrier
	s_and_saveexec_b64 s[4:5], s[12:13]
	s_cbranch_execz .LBB22_70
; %bb.67:                               ;   in Loop: Header=BB22_41 Depth=1
	ds_read_b64 v[14:15], v23
	s_waitcnt lgkmcnt(0)
	v_cmp_eq_u64_e32 vcc, v[3:4], v[14:15]
	s_and_saveexec_b64 s[36:37], vcc
	s_cbranch_execz .LBB22_69
; %bb.68:                               ;   in Loop: Header=BB22_41 Depth=1
	ds_read_b64 v[14:15], v24
	s_waitcnt lgkmcnt(0)
	v_add_f32_e32 v5, v5, v14
	v_add_f32_e32 v6, v6, v15
.LBB22_69:                              ;   in Loop: Header=BB22_41 Depth=1
	s_or_b64 exec, exec, s[36:37]
.LBB22_70:                              ;   in Loop: Header=BB22_41 Depth=1
	;; [unrolled: 21-line block ×5, first 2 shown]
	s_or_b64 exec, exec, s[4:5]
	s_barrier
	ds_write_b64 v17, v[5:6]
	s_waitcnt lgkmcnt(0)
	s_barrier
	s_and_saveexec_b64 s[36:37], s[20:21]
	s_cbranch_execz .LBB22_40
; %bb.83:                               ;   in Loop: Header=BB22_41 Depth=1
	ds_read_b64 v[14:15], v16 offset:8
	v_cmp_lt_i64_e64 s[4:5], -1, v[3:4]
	s_waitcnt lgkmcnt(0)
	v_cmp_ne_u64_e32 vcc, v[3:4], v[14:15]
	s_and_b64 s[4:5], s[4:5], vcc
	s_and_b64 exec, exec, s[4:5]
	s_cbranch_execz .LBB22_40
; %bb.84:                               ;   in Loop: Header=BB22_41 Depth=1
	v_lshlrev_b64 v[14:15], 3, v[3:4]
	v_mov_b32_e32 v31, s41
	v_add_co_u32_e32 v14, vcc, s40, v14
	v_addc_co_u32_e32 v15, vcc, v31, v15, vcc
	global_load_dwordx2 v[31:32], v[14:15], off
	s_waitcnt vmcnt(0)
	v_fma_f32 v31, v1, v5, v31
	v_fmac_f32_e32 v32, v2, v5
	v_fma_f32 v31, -v2, v6, v31
	v_fmac_f32_e32 v32, v1, v6
	global_store_dwordx2 v[14:15], v[31:32], off
	s_branch .LBB22_40
.LBB22_85:
	s_movk_i32 s0, 0xff
	v_cmp_eq_u32_e32 vcc, s0, v0
	s_and_b64 exec, exec, vcc
	s_cbranch_execz .LBB22_87
; %bb.86:
	s_lshl_b64 s[0:1], s[6:7], 3
	s_waitcnt lgkmcnt(0)
	s_add_u32 s2, s26, s0
	s_addc_u32 s3, s27, s1
	s_add_u32 s0, s24, s0
	v_mov_b32_e32 v0, 0
	v_mul_f32_e32 v7, v1, v6
	v_mul_f32_e64 v6, v6, -v2
	s_addc_u32 s1, s25, s1
	v_fmac_f32_e32 v7, v2, v5
	v_fmac_f32_e32 v6, v1, v5
	global_store_dwordx2 v0, v[3:4], s[0:1] glc slc
	global_store_dwordx2 v0, v[6:7], s[2:3] glc slc
.LBB22_87:
	s_endpgm
	.section	.rodata,"a",@progbits
	.p2align	6, 0x0
	.amdhsa_kernel _ZN9rocsparseL26coomvn_aos_segmented_loopsILj256El21rocsparse_complex_numIfES2_S2_S2_EEvlT0_NS_24const_host_device_scalarIT4_EEPKS3_PKT1_PKT2_PT3_PS3_PS5_21rocsparse_index_base_b
		.amdhsa_group_segment_fixed_size 4096
		.amdhsa_private_segment_fixed_size 0
		.amdhsa_kernarg_size 80
		.amdhsa_user_sgpr_count 6
		.amdhsa_user_sgpr_private_segment_buffer 1
		.amdhsa_user_sgpr_dispatch_ptr 0
		.amdhsa_user_sgpr_queue_ptr 0
		.amdhsa_user_sgpr_kernarg_segment_ptr 1
		.amdhsa_user_sgpr_dispatch_id 0
		.amdhsa_user_sgpr_flat_scratch_init 0
		.amdhsa_user_sgpr_private_segment_size 0
		.amdhsa_uses_dynamic_stack 0
		.amdhsa_system_sgpr_private_segment_wavefront_offset 0
		.amdhsa_system_sgpr_workgroup_id_x 1
		.amdhsa_system_sgpr_workgroup_id_y 0
		.amdhsa_system_sgpr_workgroup_id_z 0
		.amdhsa_system_sgpr_workgroup_info 0
		.amdhsa_system_vgpr_workitem_id 0
		.amdhsa_next_free_vgpr 35
		.amdhsa_next_free_sgpr 46
		.amdhsa_reserve_vcc 1
		.amdhsa_reserve_flat_scratch 0
		.amdhsa_float_round_mode_32 0
		.amdhsa_float_round_mode_16_64 0
		.amdhsa_float_denorm_mode_32 3
		.amdhsa_float_denorm_mode_16_64 3
		.amdhsa_dx10_clamp 1
		.amdhsa_ieee_mode 1
		.amdhsa_fp16_overflow 0
		.amdhsa_exception_fp_ieee_invalid_op 0
		.amdhsa_exception_fp_denorm_src 0
		.amdhsa_exception_fp_ieee_div_zero 0
		.amdhsa_exception_fp_ieee_overflow 0
		.amdhsa_exception_fp_ieee_underflow 0
		.amdhsa_exception_fp_ieee_inexact 0
		.amdhsa_exception_int_div_zero 0
	.end_amdhsa_kernel
	.section	.text._ZN9rocsparseL26coomvn_aos_segmented_loopsILj256El21rocsparse_complex_numIfES2_S2_S2_EEvlT0_NS_24const_host_device_scalarIT4_EEPKS3_PKT1_PKT2_PT3_PS3_PS5_21rocsparse_index_base_b,"axG",@progbits,_ZN9rocsparseL26coomvn_aos_segmented_loopsILj256El21rocsparse_complex_numIfES2_S2_S2_EEvlT0_NS_24const_host_device_scalarIT4_EEPKS3_PKT1_PKT2_PT3_PS3_PS5_21rocsparse_index_base_b,comdat
.Lfunc_end22:
	.size	_ZN9rocsparseL26coomvn_aos_segmented_loopsILj256El21rocsparse_complex_numIfES2_S2_S2_EEvlT0_NS_24const_host_device_scalarIT4_EEPKS3_PKT1_PKT2_PT3_PS3_PS5_21rocsparse_index_base_b, .Lfunc_end22-_ZN9rocsparseL26coomvn_aos_segmented_loopsILj256El21rocsparse_complex_numIfES2_S2_S2_EEvlT0_NS_24const_host_device_scalarIT4_EEPKS3_PKT1_PKT2_PT3_PS3_PS5_21rocsparse_index_base_b
                                        ; -- End function
	.set _ZN9rocsparseL26coomvn_aos_segmented_loopsILj256El21rocsparse_complex_numIfES2_S2_S2_EEvlT0_NS_24const_host_device_scalarIT4_EEPKS3_PKT1_PKT2_PT3_PS3_PS5_21rocsparse_index_base_b.num_vgpr, 35
	.set _ZN9rocsparseL26coomvn_aos_segmented_loopsILj256El21rocsparse_complex_numIfES2_S2_S2_EEvlT0_NS_24const_host_device_scalarIT4_EEPKS3_PKT1_PKT2_PT3_PS3_PS5_21rocsparse_index_base_b.num_agpr, 0
	.set _ZN9rocsparseL26coomvn_aos_segmented_loopsILj256El21rocsparse_complex_numIfES2_S2_S2_EEvlT0_NS_24const_host_device_scalarIT4_EEPKS3_PKT1_PKT2_PT3_PS3_PS5_21rocsparse_index_base_b.numbered_sgpr, 46
	.set _ZN9rocsparseL26coomvn_aos_segmented_loopsILj256El21rocsparse_complex_numIfES2_S2_S2_EEvlT0_NS_24const_host_device_scalarIT4_EEPKS3_PKT1_PKT2_PT3_PS3_PS5_21rocsparse_index_base_b.num_named_barrier, 0
	.set _ZN9rocsparseL26coomvn_aos_segmented_loopsILj256El21rocsparse_complex_numIfES2_S2_S2_EEvlT0_NS_24const_host_device_scalarIT4_EEPKS3_PKT1_PKT2_PT3_PS3_PS5_21rocsparse_index_base_b.private_seg_size, 0
	.set _ZN9rocsparseL26coomvn_aos_segmented_loopsILj256El21rocsparse_complex_numIfES2_S2_S2_EEvlT0_NS_24const_host_device_scalarIT4_EEPKS3_PKT1_PKT2_PT3_PS3_PS5_21rocsparse_index_base_b.uses_vcc, 1
	.set _ZN9rocsparseL26coomvn_aos_segmented_loopsILj256El21rocsparse_complex_numIfES2_S2_S2_EEvlT0_NS_24const_host_device_scalarIT4_EEPKS3_PKT1_PKT2_PT3_PS3_PS5_21rocsparse_index_base_b.uses_flat_scratch, 0
	.set _ZN9rocsparseL26coomvn_aos_segmented_loopsILj256El21rocsparse_complex_numIfES2_S2_S2_EEvlT0_NS_24const_host_device_scalarIT4_EEPKS3_PKT1_PKT2_PT3_PS3_PS5_21rocsparse_index_base_b.has_dyn_sized_stack, 0
	.set _ZN9rocsparseL26coomvn_aos_segmented_loopsILj256El21rocsparse_complex_numIfES2_S2_S2_EEvlT0_NS_24const_host_device_scalarIT4_EEPKS3_PKT1_PKT2_PT3_PS3_PS5_21rocsparse_index_base_b.has_recursion, 0
	.set _ZN9rocsparseL26coomvn_aos_segmented_loopsILj256El21rocsparse_complex_numIfES2_S2_S2_EEvlT0_NS_24const_host_device_scalarIT4_EEPKS3_PKT1_PKT2_PT3_PS3_PS5_21rocsparse_index_base_b.has_indirect_call, 0
	.section	.AMDGPU.csdata,"",@progbits
; Kernel info:
; codeLenInByte = 2748
; TotalNumSgprs: 50
; NumVgprs: 35
; ScratchSize: 0
; MemoryBound: 0
; FloatMode: 240
; IeeeMode: 1
; LDSByteSize: 4096 bytes/workgroup (compile time only)
; SGPRBlocks: 6
; VGPRBlocks: 8
; NumSGPRsForWavesPerEU: 50
; NumVGPRsForWavesPerEU: 35
; Occupancy: 7
; WaveLimiterHint : 1
; COMPUTE_PGM_RSRC2:SCRATCH_EN: 0
; COMPUTE_PGM_RSRC2:USER_SGPR: 6
; COMPUTE_PGM_RSRC2:TRAP_HANDLER: 0
; COMPUTE_PGM_RSRC2:TGID_X_EN: 1
; COMPUTE_PGM_RSRC2:TGID_Y_EN: 0
; COMPUTE_PGM_RSRC2:TGID_Z_EN: 0
; COMPUTE_PGM_RSRC2:TIDIG_COMP_CNT: 0
	.section	.text._ZN9rocsparseL29coomvn_segmented_loops_reduceILj256El21rocsparse_complex_numIfES2_EEvT0_NS_24const_host_device_scalarIT2_EEPKS3_PKS5_PT1_b,"axG",@progbits,_ZN9rocsparseL29coomvn_segmented_loops_reduceILj256El21rocsparse_complex_numIfES2_EEvT0_NS_24const_host_device_scalarIT2_EEPKS3_PKS5_PT1_b,comdat
	.globl	_ZN9rocsparseL29coomvn_segmented_loops_reduceILj256El21rocsparse_complex_numIfES2_EEvT0_NS_24const_host_device_scalarIT2_EEPKS3_PKS5_PT1_b ; -- Begin function _ZN9rocsparseL29coomvn_segmented_loops_reduceILj256El21rocsparse_complex_numIfES2_EEvT0_NS_24const_host_device_scalarIT2_EEPKS3_PKS5_PT1_b
	.p2align	8
	.type	_ZN9rocsparseL29coomvn_segmented_loops_reduceILj256El21rocsparse_complex_numIfES2_EEvT0_NS_24const_host_device_scalarIT2_EEPKS3_PKS5_PT1_b,@function
_ZN9rocsparseL29coomvn_segmented_loops_reduceILj256El21rocsparse_complex_numIfES2_EEvT0_NS_24const_host_device_scalarIT2_EEPKS3_PKS5_PT1_b: ; @_ZN9rocsparseL29coomvn_segmented_loops_reduceILj256El21rocsparse_complex_numIfES2_EEvT0_NS_24const_host_device_scalarIT2_EEPKS3_PKS5_PT1_b
; %bb.0:
	s_load_dword s0, s[4:5], 0x28
	s_load_dwordx4 s[8:11], s[4:5], 0x0
	s_or_b32 s1, s4, 8
	s_waitcnt lgkmcnt(0)
	s_bitcmp1_b32 s0, 0
	s_cselect_b32 s0, s5, s11
	s_cselect_b32 s1, s1, s10
	v_mov_b32_e32 v1, s1
	v_mov_b32_e32 v2, s0
	flat_load_dwordx2 v[1:2], v[1:2]
	s_waitcnt vmcnt(0) lgkmcnt(0)
	v_cmp_neq_f32_e32 vcc, 0, v1
	v_cmp_neq_f32_e64 s[0:1], 0, v2
	s_or_b64 s[0:1], vcc, s[0:1]
	s_and_saveexec_b64 s[2:3], s[0:1]
	s_cbranch_execz .LBB23_42
; %bb.1:
	v_cmp_lt_i64_e64 s[0:1], s[8:9], 1
	s_and_b64 vcc, exec, s[0:1]
	s_cbranch_vccnz .LBB23_42
; %bb.2:
	v_subrev_co_u32_e32 v1, vcc, 1, v0
	v_mov_b32_e32 v2, 0x800
	s_xor_b64 s[10:11], vcc, -1
	v_lshl_add_u32 v11, v1, 3, v2
	v_subrev_co_u32_e32 v1, vcc, 2, v0
	s_xor_b64 s[16:17], vcc, -1
	v_lshl_add_u32 v12, v1, 3, v2
	v_subrev_co_u32_e32 v1, vcc, 4, v0
	;; [unrolled: 3-line block ×3, first 2 shown]
	s_load_dwordx4 s[12:15], s[4:5], 0x10
	s_load_dwordx2 s[6:7], s[4:5], 0x20
	s_xor_b64 s[20:21], vcc, -1
	v_lshl_add_u32 v16, v1, 3, v2
	v_subrev_co_u32_e32 v1, vcc, 16, v0
	s_xor_b64 s[22:23], vcc, -1
	v_lshl_add_u32 v17, v1, 3, v2
	v_subrev_co_u32_e32 v1, vcc, 32, v0
	v_lshl_add_u32 v18, v1, 3, v2
	v_subrev_co_u32_e64 v1, s[0:1], 64, v0
	s_movk_i32 s2, 0x80
	v_lshlrev_b32_e32 v9, 3, v0
	v_lshl_add_u32 v19, v1, 3, v2
	v_subrev_co_u32_e64 v1, s[2:3], s2, v0
	v_lshl_add_u32 v20, v1, 3, v2
	s_waitcnt lgkmcnt(0)
	v_mov_b32_e32 v1, s15
	v_add_co_u32_e64 v2, s[4:5], s14, v9
	v_addc_co_u32_e64 v3, s[4:5], 0, v1, s[4:5]
	v_add_co_u32_e64 v1, s[4:5], 4, v2
	v_addc_co_u32_e64 v2, s[4:5], 0, v3, s[4:5]
	v_mov_b32_e32 v4, s13
	v_add_co_u32_e64 v3, s[4:5], s12, v9
	v_addc_co_u32_e64 v4, s[4:5], 0, v4, s[4:5]
	s_xor_b64 s[12:13], s[0:1], -1
	s_movk_i32 s0, 0xff
	v_or_b32_e32 v10, 0x800, v9
	v_subrev_u32_e32 v13, 32, v9
	v_subrev_u32_e32 v15, 64, v9
	v_add_u32_e32 v21, 0xffffff80, v9
	s_xor_b64 s[4:5], vcc, -1
	s_xor_b64 s[14:15], s[2:3], -1
	v_cmp_gt_u32_e64 s[0:1], s0, v0
	s_mov_b64 s[24:25], 0
	v_add_u32_e32 v22, 0xffffff00, v9
	v_add_u32_e32 v23, 0xfffffe00, v9
	;; [unrolled: 1-line block ×3, first 2 shown]
	s_branch .LBB23_4
.LBB23_3:                               ;   in Loop: Header=BB23_4 Depth=1
	s_or_b64 exec, exec, s[2:3]
	s_add_u32 s24, s24, 0x100
	v_add_co_u32_e32 v1, vcc, 0x800, v1
	v_mov_b32_e32 v5, s8
	s_addc_u32 s25, s25, 0
	v_addc_co_u32_e32 v2, vcc, 0, v2, vcc
	v_mov_b32_e32 v6, s9
	v_add_co_u32_e32 v3, vcc, 0x800, v3
	v_cmp_lt_i64_e64 s[2:3], s[24:25], v[5:6]
	v_addc_co_u32_e32 v4, vcc, 0, v4, vcc
	s_and_b64 vcc, exec, s[2:3]
	s_waitcnt vmcnt(0)
	s_barrier
	s_cbranch_vccz .LBB23_42
.LBB23_4:                               ; =>This Inner Loop Header: Depth=1
	v_mov_b32_e32 v6, s25
	v_add_co_u32_e32 v5, vcc, s24, v0
	v_addc_co_u32_e32 v6, vcc, 0, v6, vcc
	v_cmp_gt_i64_e32 vcc, s[8:9], v[5:6]
	v_mov_b32_e32 v7, -1
	v_mov_b32_e32 v8, -1
	v_mov_b32_e32 v6, 0
	v_mov_b32_e32 v5, 0
	s_and_saveexec_b64 s[2:3], vcc
	s_cbranch_execz .LBB23_6
; %bb.5:                                ;   in Loop: Header=BB23_4 Depth=1
	global_load_dwordx2 v[7:8], v[3:4], off
	global_load_dwordx2 v[5:6], v[1:2], off offset:-4
.LBB23_6:                               ;   in Loop: Header=BB23_4 Depth=1
	s_or_b64 exec, exec, s[2:3]
	s_waitcnt vmcnt(1)
	ds_write_b64 v9, v[7:8]
	s_waitcnt vmcnt(0)
	ds_write_b64 v10, v[5:6]
	v_mov_b32_e32 v6, 0
	v_mov_b32_e32 v8, 0
	;; [unrolled: 1-line block ×3, first 2 shown]
	s_waitcnt lgkmcnt(0)
	s_barrier
	s_and_saveexec_b64 s[2:3], s[10:11]
	s_cbranch_execz .LBB23_10
; %bb.7:                                ;   in Loop: Header=BB23_4 Depth=1
	v_add_u32_e32 v5, -8, v9
	ds_read2_b64 v[25:28], v5 offset1:1
	v_mov_b32_e32 v7, 0
	v_mov_b32_e32 v8, 0
	s_waitcnt lgkmcnt(0)
	v_cmp_eq_u64_e32 vcc, v[27:28], v[25:26]
	s_and_saveexec_b64 s[26:27], vcc
; %bb.8:                                ;   in Loop: Header=BB23_4 Depth=1
	ds_read_b64 v[7:8], v11
; %bb.9:                                ;   in Loop: Header=BB23_4 Depth=1
	s_or_b64 exec, exec, s[26:27]
.LBB23_10:                              ;   in Loop: Header=BB23_4 Depth=1
	s_or_b64 exec, exec, s[2:3]
	s_waitcnt lgkmcnt(0)
	s_barrier
	ds_read_b64 v[25:26], v10
	v_mov_b32_e32 v5, 0
	s_waitcnt lgkmcnt(0)
	v_add_f32_e32 v7, v7, v25
	v_add_f32_e32 v8, v8, v26
	ds_write_b64 v10, v[7:8]
	s_waitcnt lgkmcnt(0)
	s_barrier
	s_and_saveexec_b64 s[2:3], s[16:17]
	s_cbranch_execz .LBB23_14
; %bb.11:                               ;   in Loop: Header=BB23_4 Depth=1
	v_add_u32_e32 v7, -16, v9
	ds_read_b64 v[5:6], v9
	ds_read_b64 v[7:8], v7
	s_waitcnt lgkmcnt(0)
	v_cmp_eq_u64_e32 vcc, v[5:6], v[7:8]
	v_mov_b32_e32 v5, 0
	v_mov_b32_e32 v6, 0
	s_and_saveexec_b64 s[26:27], vcc
; %bb.12:                               ;   in Loop: Header=BB23_4 Depth=1
	ds_read_b64 v[5:6], v12
; %bb.13:                               ;   in Loop: Header=BB23_4 Depth=1
	s_or_b64 exec, exec, s[26:27]
.LBB23_14:                              ;   in Loop: Header=BB23_4 Depth=1
	s_or_b64 exec, exec, s[2:3]
	s_waitcnt lgkmcnt(0)
	s_barrier
	ds_read_b64 v[7:8], v10
	s_waitcnt lgkmcnt(0)
	v_add_f32_e32 v5, v5, v7
	v_add_f32_e32 v6, v6, v8
	ds_write_b64 v10, v[5:6]
	v_mov_b32_e32 v6, 0
	v_mov_b32_e32 v8, 0
	v_mov_b32_e32 v7, 0
	s_waitcnt lgkmcnt(0)
	s_barrier
	s_and_saveexec_b64 s[2:3], s[18:19]
	s_cbranch_execz .LBB23_18
; %bb.15:                               ;   in Loop: Header=BB23_4 Depth=1
	ds_read_b64 v[7:8], v9
	ds_read_b64 v[25:26], v13
	s_waitcnt lgkmcnt(0)
	v_cmp_eq_u64_e32 vcc, v[7:8], v[25:26]
	v_mov_b32_e32 v7, 0
	v_mov_b32_e32 v8, 0
	s_and_saveexec_b64 s[26:27], vcc
; %bb.16:                               ;   in Loop: Header=BB23_4 Depth=1
	ds_read_b64 v[7:8], v14
; %bb.17:                               ;   in Loop: Header=BB23_4 Depth=1
	s_or_b64 exec, exec, s[26:27]
.LBB23_18:                              ;   in Loop: Header=BB23_4 Depth=1
	s_or_b64 exec, exec, s[2:3]
	s_waitcnt lgkmcnt(0)
	s_barrier
	ds_read_b64 v[25:26], v10
	v_mov_b32_e32 v5, 0
	s_waitcnt lgkmcnt(0)
	v_add_f32_e32 v7, v7, v25
	v_add_f32_e32 v8, v8, v26
	ds_write_b64 v10, v[7:8]
	s_waitcnt lgkmcnt(0)
	s_barrier
	s_and_saveexec_b64 s[2:3], s[20:21]
	s_cbranch_execz .LBB23_22
; %bb.19:                               ;   in Loop: Header=BB23_4 Depth=1
	ds_read_b64 v[5:6], v9
	ds_read_b64 v[7:8], v15
	s_waitcnt lgkmcnt(0)
	v_cmp_eq_u64_e32 vcc, v[5:6], v[7:8]
	v_mov_b32_e32 v5, 0
	v_mov_b32_e32 v6, 0
	s_and_saveexec_b64 s[26:27], vcc
; %bb.20:                               ;   in Loop: Header=BB23_4 Depth=1
	ds_read_b64 v[5:6], v16
; %bb.21:                               ;   in Loop: Header=BB23_4 Depth=1
	s_or_b64 exec, exec, s[26:27]
.LBB23_22:                              ;   in Loop: Header=BB23_4 Depth=1
	s_or_b64 exec, exec, s[2:3]
	s_waitcnt lgkmcnt(0)
	s_barrier
	ds_read_b64 v[7:8], v10
	s_waitcnt lgkmcnt(0)
	v_add_f32_e32 v5, v5, v7
	v_add_f32_e32 v6, v6, v8
	ds_write_b64 v10, v[5:6]
	v_mov_b32_e32 v6, 0
	v_mov_b32_e32 v8, 0
	v_mov_b32_e32 v7, 0
	s_waitcnt lgkmcnt(0)
	s_barrier
	s_and_saveexec_b64 s[2:3], s[22:23]
	s_cbranch_execz .LBB23_26
; %bb.23:                               ;   in Loop: Header=BB23_4 Depth=1
	ds_read_b64 v[7:8], v9
	ds_read_b64 v[25:26], v21
	s_waitcnt lgkmcnt(0)
	v_cmp_eq_u64_e32 vcc, v[7:8], v[25:26]
	v_mov_b32_e32 v7, 0
	v_mov_b32_e32 v8, 0
	s_and_saveexec_b64 s[26:27], vcc
; %bb.24:                               ;   in Loop: Header=BB23_4 Depth=1
	ds_read_b64 v[7:8], v17
; %bb.25:                               ;   in Loop: Header=BB23_4 Depth=1
	s_or_b64 exec, exec, s[26:27]
.LBB23_26:                              ;   in Loop: Header=BB23_4 Depth=1
	s_or_b64 exec, exec, s[2:3]
	s_waitcnt lgkmcnt(0)
	s_barrier
	ds_read_b64 v[25:26], v10
	v_mov_b32_e32 v5, 0
	s_waitcnt lgkmcnt(0)
	v_add_f32_e32 v7, v7, v25
	v_add_f32_e32 v8, v8, v26
	ds_write_b64 v10, v[7:8]
	s_waitcnt lgkmcnt(0)
	s_barrier
	s_and_saveexec_b64 s[2:3], s[4:5]
	s_cbranch_execz .LBB23_30
; %bb.27:                               ;   in Loop: Header=BB23_4 Depth=1
	ds_read_b64 v[5:6], v9
	ds_read_b64 v[7:8], v22
	s_waitcnt lgkmcnt(0)
	v_cmp_eq_u64_e32 vcc, v[5:6], v[7:8]
	v_mov_b32_e32 v5, 0
	v_mov_b32_e32 v6, 0
	s_and_saveexec_b64 s[26:27], vcc
; %bb.28:                               ;   in Loop: Header=BB23_4 Depth=1
	ds_read_b64 v[5:6], v18
; %bb.29:                               ;   in Loop: Header=BB23_4 Depth=1
	s_or_b64 exec, exec, s[26:27]
.LBB23_30:                              ;   in Loop: Header=BB23_4 Depth=1
	s_or_b64 exec, exec, s[2:3]
	s_waitcnt lgkmcnt(0)
	s_barrier
	ds_read_b64 v[7:8], v10
	s_waitcnt lgkmcnt(0)
	v_add_f32_e32 v5, v5, v7
	v_add_f32_e32 v6, v6, v8
	ds_write_b64 v10, v[5:6]
	v_mov_b32_e32 v6, 0
	v_mov_b32_e32 v8, 0
	v_mov_b32_e32 v7, 0
	s_waitcnt lgkmcnt(0)
	s_barrier
	s_and_saveexec_b64 s[2:3], s[12:13]
	s_cbranch_execz .LBB23_34
; %bb.31:                               ;   in Loop: Header=BB23_4 Depth=1
	ds_read_b64 v[7:8], v9
	ds_read_b64 v[25:26], v23
	s_waitcnt lgkmcnt(0)
	v_cmp_eq_u64_e32 vcc, v[7:8], v[25:26]
	v_mov_b32_e32 v7, 0
	v_mov_b32_e32 v8, 0
	s_and_saveexec_b64 s[26:27], vcc
; %bb.32:                               ;   in Loop: Header=BB23_4 Depth=1
	ds_read_b64 v[7:8], v19
; %bb.33:                               ;   in Loop: Header=BB23_4 Depth=1
	s_or_b64 exec, exec, s[26:27]
.LBB23_34:                              ;   in Loop: Header=BB23_4 Depth=1
	s_or_b64 exec, exec, s[2:3]
	s_waitcnt lgkmcnt(0)
	s_barrier
	ds_read_b64 v[25:26], v10
	v_mov_b32_e32 v5, 0
	s_waitcnt lgkmcnt(0)
	v_add_f32_e32 v7, v7, v25
	v_add_f32_e32 v8, v8, v26
	ds_write_b64 v10, v[7:8]
	s_waitcnt lgkmcnt(0)
	s_barrier
	s_and_saveexec_b64 s[2:3], s[14:15]
	s_cbranch_execz .LBB23_38
; %bb.35:                               ;   in Loop: Header=BB23_4 Depth=1
	ds_read_b64 v[5:6], v9
	ds_read_b64 v[7:8], v24
	s_waitcnt lgkmcnt(0)
	v_cmp_eq_u64_e32 vcc, v[5:6], v[7:8]
	v_mov_b32_e32 v5, 0
	v_mov_b32_e32 v6, 0
	s_and_saveexec_b64 s[26:27], vcc
; %bb.36:                               ;   in Loop: Header=BB23_4 Depth=1
	ds_read_b64 v[5:6], v20
; %bb.37:                               ;   in Loop: Header=BB23_4 Depth=1
	s_or_b64 exec, exec, s[26:27]
.LBB23_38:                              ;   in Loop: Header=BB23_4 Depth=1
	s_or_b64 exec, exec, s[2:3]
	s_waitcnt lgkmcnt(0)
	s_barrier
	ds_read_b64 v[7:8], v10
	s_waitcnt lgkmcnt(0)
	v_add_f32_e32 v5, v5, v7
	v_add_f32_e32 v6, v6, v8
	ds_write_b64 v10, v[5:6]
	s_waitcnt lgkmcnt(0)
	s_barrier
	ds_read_b64 v[5:6], v9
	v_mov_b32_e32 v7, -1
	v_mov_b32_e32 v8, -1
	s_and_saveexec_b64 s[2:3], s[0:1]
; %bb.39:                               ;   in Loop: Header=BB23_4 Depth=1
	ds_read_b64 v[7:8], v9 offset:8
; %bb.40:                               ;   in Loop: Header=BB23_4 Depth=1
	s_or_b64 exec, exec, s[2:3]
	s_waitcnt lgkmcnt(0)
	v_cmp_ne_u64_e32 vcc, v[5:6], v[7:8]
	v_cmp_lt_i64_e64 s[2:3], -1, v[5:6]
	s_and_b64 s[26:27], s[2:3], vcc
	s_and_saveexec_b64 s[2:3], s[26:27]
	s_cbranch_execz .LBB23_3
; %bb.41:                               ;   in Loop: Header=BB23_4 Depth=1
	v_lshlrev_b64 v[5:6], 3, v[5:6]
	v_mov_b32_e32 v7, s7
	v_add_co_u32_e32 v5, vcc, s6, v5
	v_addc_co_u32_e32 v6, vcc, v7, v6, vcc
	global_load_dwordx2 v[7:8], v[5:6], off
	ds_read_b64 v[25:26], v10
	s_waitcnt vmcnt(0) lgkmcnt(0)
	v_add_f32_e32 v7, v25, v7
	v_add_f32_e32 v8, v26, v8
	global_store_dwordx2 v[5:6], v[7:8], off
	s_branch .LBB23_3
.LBB23_42:
	s_endpgm
	.section	.rodata,"a",@progbits
	.p2align	6, 0x0
	.amdhsa_kernel _ZN9rocsparseL29coomvn_segmented_loops_reduceILj256El21rocsparse_complex_numIfES2_EEvT0_NS_24const_host_device_scalarIT2_EEPKS3_PKS5_PT1_b
		.amdhsa_group_segment_fixed_size 4096
		.amdhsa_private_segment_fixed_size 0
		.amdhsa_kernarg_size 44
		.amdhsa_user_sgpr_count 6
		.amdhsa_user_sgpr_private_segment_buffer 1
		.amdhsa_user_sgpr_dispatch_ptr 0
		.amdhsa_user_sgpr_queue_ptr 0
		.amdhsa_user_sgpr_kernarg_segment_ptr 1
		.amdhsa_user_sgpr_dispatch_id 0
		.amdhsa_user_sgpr_flat_scratch_init 0
		.amdhsa_user_sgpr_private_segment_size 0
		.amdhsa_uses_dynamic_stack 0
		.amdhsa_system_sgpr_private_segment_wavefront_offset 0
		.amdhsa_system_sgpr_workgroup_id_x 1
		.amdhsa_system_sgpr_workgroup_id_y 0
		.amdhsa_system_sgpr_workgroup_id_z 0
		.amdhsa_system_sgpr_workgroup_info 0
		.amdhsa_system_vgpr_workitem_id 0
		.amdhsa_next_free_vgpr 29
		.amdhsa_next_free_sgpr 28
		.amdhsa_reserve_vcc 1
		.amdhsa_reserve_flat_scratch 0
		.amdhsa_float_round_mode_32 0
		.amdhsa_float_round_mode_16_64 0
		.amdhsa_float_denorm_mode_32 3
		.amdhsa_float_denorm_mode_16_64 3
		.amdhsa_dx10_clamp 1
		.amdhsa_ieee_mode 1
		.amdhsa_fp16_overflow 0
		.amdhsa_exception_fp_ieee_invalid_op 0
		.amdhsa_exception_fp_denorm_src 0
		.amdhsa_exception_fp_ieee_div_zero 0
		.amdhsa_exception_fp_ieee_overflow 0
		.amdhsa_exception_fp_ieee_underflow 0
		.amdhsa_exception_fp_ieee_inexact 0
		.amdhsa_exception_int_div_zero 0
	.end_amdhsa_kernel
	.section	.text._ZN9rocsparseL29coomvn_segmented_loops_reduceILj256El21rocsparse_complex_numIfES2_EEvT0_NS_24const_host_device_scalarIT2_EEPKS3_PKS5_PT1_b,"axG",@progbits,_ZN9rocsparseL29coomvn_segmented_loops_reduceILj256El21rocsparse_complex_numIfES2_EEvT0_NS_24const_host_device_scalarIT2_EEPKS3_PKS5_PT1_b,comdat
.Lfunc_end23:
	.size	_ZN9rocsparseL29coomvn_segmented_loops_reduceILj256El21rocsparse_complex_numIfES2_EEvT0_NS_24const_host_device_scalarIT2_EEPKS3_PKS5_PT1_b, .Lfunc_end23-_ZN9rocsparseL29coomvn_segmented_loops_reduceILj256El21rocsparse_complex_numIfES2_EEvT0_NS_24const_host_device_scalarIT2_EEPKS3_PKS5_PT1_b
                                        ; -- End function
	.set _ZN9rocsparseL29coomvn_segmented_loops_reduceILj256El21rocsparse_complex_numIfES2_EEvT0_NS_24const_host_device_scalarIT2_EEPKS3_PKS5_PT1_b.num_vgpr, 29
	.set _ZN9rocsparseL29coomvn_segmented_loops_reduceILj256El21rocsparse_complex_numIfES2_EEvT0_NS_24const_host_device_scalarIT2_EEPKS3_PKS5_PT1_b.num_agpr, 0
	.set _ZN9rocsparseL29coomvn_segmented_loops_reduceILj256El21rocsparse_complex_numIfES2_EEvT0_NS_24const_host_device_scalarIT2_EEPKS3_PKS5_PT1_b.numbered_sgpr, 28
	.set _ZN9rocsparseL29coomvn_segmented_loops_reduceILj256El21rocsparse_complex_numIfES2_EEvT0_NS_24const_host_device_scalarIT2_EEPKS3_PKS5_PT1_b.num_named_barrier, 0
	.set _ZN9rocsparseL29coomvn_segmented_loops_reduceILj256El21rocsparse_complex_numIfES2_EEvT0_NS_24const_host_device_scalarIT2_EEPKS3_PKS5_PT1_b.private_seg_size, 0
	.set _ZN9rocsparseL29coomvn_segmented_loops_reduceILj256El21rocsparse_complex_numIfES2_EEvT0_NS_24const_host_device_scalarIT2_EEPKS3_PKS5_PT1_b.uses_vcc, 1
	.set _ZN9rocsparseL29coomvn_segmented_loops_reduceILj256El21rocsparse_complex_numIfES2_EEvT0_NS_24const_host_device_scalarIT2_EEPKS3_PKS5_PT1_b.uses_flat_scratch, 0
	.set _ZN9rocsparseL29coomvn_segmented_loops_reduceILj256El21rocsparse_complex_numIfES2_EEvT0_NS_24const_host_device_scalarIT2_EEPKS3_PKS5_PT1_b.has_dyn_sized_stack, 0
	.set _ZN9rocsparseL29coomvn_segmented_loops_reduceILj256El21rocsparse_complex_numIfES2_EEvT0_NS_24const_host_device_scalarIT2_EEPKS3_PKS5_PT1_b.has_recursion, 0
	.set _ZN9rocsparseL29coomvn_segmented_loops_reduceILj256El21rocsparse_complex_numIfES2_EEvT0_NS_24const_host_device_scalarIT2_EEPKS3_PKS5_PT1_b.has_indirect_call, 0
	.section	.AMDGPU.csdata,"",@progbits
; Kernel info:
; codeLenInByte = 1576
; TotalNumSgprs: 32
; NumVgprs: 29
; ScratchSize: 0
; MemoryBound: 0
; FloatMode: 240
; IeeeMode: 1
; LDSByteSize: 4096 bytes/workgroup (compile time only)
; SGPRBlocks: 3
; VGPRBlocks: 7
; NumSGPRsForWavesPerEU: 32
; NumVGPRsForWavesPerEU: 29
; Occupancy: 8
; WaveLimiterHint : 0
; COMPUTE_PGM_RSRC2:SCRATCH_EN: 0
; COMPUTE_PGM_RSRC2:USER_SGPR: 6
; COMPUTE_PGM_RSRC2:TRAP_HANDLER: 0
; COMPUTE_PGM_RSRC2:TGID_X_EN: 1
; COMPUTE_PGM_RSRC2:TGID_Y_EN: 0
; COMPUTE_PGM_RSRC2:TGID_Z_EN: 0
; COMPUTE_PGM_RSRC2:TIDIG_COMP_CNT: 0
	.section	.text._ZN9rocsparseL23coomvn_aos_atomic_loopsILj256ELj1Ei21rocsparse_complex_numIdES2_S2_S2_EEvlNS_24const_host_device_scalarIT5_EEPKT1_PKT2_PKT3_PT4_21rocsparse_index_base_b,"axG",@progbits,_ZN9rocsparseL23coomvn_aos_atomic_loopsILj256ELj1Ei21rocsparse_complex_numIdES2_S2_S2_EEvlNS_24const_host_device_scalarIT5_EEPKT1_PKT2_PKT3_PT4_21rocsparse_index_base_b,comdat
	.globl	_ZN9rocsparseL23coomvn_aos_atomic_loopsILj256ELj1Ei21rocsparse_complex_numIdES2_S2_S2_EEvlNS_24const_host_device_scalarIT5_EEPKT1_PKT2_PKT3_PT4_21rocsparse_index_base_b ; -- Begin function _ZN9rocsparseL23coomvn_aos_atomic_loopsILj256ELj1Ei21rocsparse_complex_numIdES2_S2_S2_EEvlNS_24const_host_device_scalarIT5_EEPKT1_PKT2_PKT3_PT4_21rocsparse_index_base_b
	.p2align	8
	.type	_ZN9rocsparseL23coomvn_aos_atomic_loopsILj256ELj1Ei21rocsparse_complex_numIdES2_S2_S2_EEvlNS_24const_host_device_scalarIT5_EEPKT1_PKT2_PKT3_PT4_21rocsparse_index_base_b,@function
_ZN9rocsparseL23coomvn_aos_atomic_loopsILj256ELj1Ei21rocsparse_complex_numIdES2_S2_S2_EEvlNS_24const_host_device_scalarIT5_EEPKT1_PKT2_PKT3_PT4_21rocsparse_index_base_b: ; @_ZN9rocsparseL23coomvn_aos_atomic_loopsILj256ELj1Ei21rocsparse_complex_numIdES2_S2_S2_EEvlNS_24const_host_device_scalarIT5_EEPKT1_PKT2_PKT3_PT4_21rocsparse_index_base_b
; %bb.0:
	s_load_dwordx2 s[2:3], s[4:5], 0x38
	s_load_dwordx4 s[8:11], s[4:5], 0x0
	s_or_b32 s0, s4, 8
	s_waitcnt lgkmcnt(0)
	s_bitcmp1_b32 s3, 0
	s_cselect_b32 s1, s5, s11
	s_cselect_b32 s0, s0, s10
	v_mov_b32_e32 v1, s0
	v_mov_b32_e32 v2, s1
	flat_load_dwordx4 v[1:4], v[1:2]
	s_waitcnt vmcnt(0) lgkmcnt(0)
	v_cmp_neq_f64_e32 vcc, 0, v[1:2]
	v_cmp_neq_f64_e64 s[0:1], 0, v[3:4]
	s_or_b64 s[0:1], vcc, s[0:1]
	s_and_saveexec_b64 s[10:11], s[0:1]
	s_cbranch_execz .LBB24_46
; %bb.1:
	v_mov_b32_e32 v5, 0
	v_lshl_or_b32 v9, s6, 8, v0
	v_mov_b32_e32 v10, 0
	v_mov_b32_e32 v6, 0
	v_cmp_gt_i64_e32 vcc, s[8:9], v[9:10]
	v_mov_b32_e32 v8, v6
	v_mov_b32_e32 v13, -1
	v_mov_b32_e32 v7, v5
	s_and_saveexec_b64 s[0:1], vcc
	s_cbranch_execz .LBB24_3
; %bb.2:
	s_load_dwordx4 s[8:11], s[4:5], 0x18
	s_load_dwordx2 s[6:7], s[4:5], 0x28
	v_lshlrev_b64 v[5:6], 3, v[9:10]
	s_waitcnt lgkmcnt(0)
	v_mov_b32_e32 v7, s9
	v_add_co_u32_e32 v5, vcc, s8, v5
	v_addc_co_u32_e32 v6, vcc, v7, v6, vcc
	global_load_dwordx2 v[13:14], v[5:6], off glc slc
	v_lshlrev_b64 v[5:6], 4, v[9:10]
	v_mov_b32_e32 v7, s11
	v_add_co_u32_e32 v5, vcc, s10, v5
	v_addc_co_u32_e32 v6, vcc, v7, v6, vcc
	v_mov_b32_e32 v11, s7
	global_load_dwordx4 v[5:8], v[5:6], off glc slc
	s_waitcnt vmcnt(1)
	v_subrev_u32_e32 v9, s2, v14
	v_ashrrev_i32_e32 v10, 31, v9
	v_lshlrev_b64 v[9:10], 4, v[9:10]
	v_subrev_u32_e32 v13, s2, v13
	v_add_co_u32_e32 v9, vcc, s6, v9
	v_addc_co_u32_e32 v10, vcc, v11, v10, vcc
	global_load_dwordx4 v[9:12], v[9:10], off
	s_waitcnt vmcnt(0)
	v_mul_f64 v[14:15], v[11:12], -v[7:8]
	v_mul_f64 v[11:12], v[5:6], v[11:12]
	v_fma_f64 v[5:6], v[5:6], v[9:10], v[14:15]
	v_fma_f64 v[7:8], v[7:8], v[9:10], v[11:12]
.LBB24_3:
	s_or_b64 exec, exec, s[0:1]
	v_lshlrev_b32_e32 v10, 2, v0
	v_or_b32_e32 v9, 0x1000, v10
	ds_write_b32 v10, v13 offset:4096
	v_lshlrev_b32_e32 v10, 4, v0
	v_cmp_ne_u32_e32 vcc, 0, v0
	ds_write_b128 v10, v[5:8]
	s_waitcnt lgkmcnt(0)
	s_barrier
	s_and_saveexec_b64 s[0:1], vcc
	s_cbranch_execz .LBB24_7
; %bb.4:
	v_add_u32_e32 v11, -4, v9
	ds_read_b32 v11, v11
	s_waitcnt lgkmcnt(0)
	v_cmp_eq_u32_e32 vcc, v13, v11
	s_and_saveexec_b64 s[2:3], vcc
	s_cbranch_execz .LBB24_6
; %bb.5:
	v_add_u32_e32 v11, -16, v10
	ds_read_b128 v[14:17], v11
	s_waitcnt lgkmcnt(0)
	v_add_f64 v[5:6], v[5:6], v[14:15]
	v_add_f64 v[7:8], v[7:8], v[16:17]
.LBB24_6:
	s_or_b64 exec, exec, s[2:3]
.LBB24_7:
	s_or_b64 exec, exec, s[0:1]
	v_cmp_lt_u32_e32 vcc, 1, v0
	s_barrier
	ds_write_b128 v10, v[5:8]
	s_waitcnt lgkmcnt(0)
	s_barrier
	s_and_saveexec_b64 s[0:1], vcc
	s_cbranch_execz .LBB24_11
; %bb.8:
	v_add_u32_e32 v11, -8, v9
	ds_read_b32 v11, v11
	s_waitcnt lgkmcnt(0)
	v_cmp_eq_u32_e32 vcc, v13, v11
	s_and_saveexec_b64 s[2:3], vcc
	s_cbranch_execz .LBB24_10
; %bb.9:
	v_subrev_u32_e32 v11, 32, v10
	ds_read_b128 v[14:17], v11
	s_waitcnt lgkmcnt(0)
	v_add_f64 v[5:6], v[5:6], v[14:15]
	v_add_f64 v[7:8], v[7:8], v[16:17]
.LBB24_10:
	s_or_b64 exec, exec, s[2:3]
.LBB24_11:
	s_or_b64 exec, exec, s[0:1]
	v_cmp_lt_u32_e32 vcc, 3, v0
	s_barrier
	ds_write_b128 v10, v[5:8]
	s_waitcnt lgkmcnt(0)
	s_barrier
	s_and_saveexec_b64 s[0:1], vcc
	s_cbranch_execz .LBB24_15
; %bb.12:
	v_add_u32_e32 v11, -16, v9
	ds_read_b32 v11, v11
	s_waitcnt lgkmcnt(0)
	v_cmp_eq_u32_e32 vcc, v13, v11
	s_and_saveexec_b64 s[2:3], vcc
	s_cbranch_execz .LBB24_14
; %bb.13:
	v_subrev_u32_e32 v11, 64, v10
	ds_read_b128 v[14:17], v11
	s_waitcnt lgkmcnt(0)
	v_add_f64 v[5:6], v[5:6], v[14:15]
	v_add_f64 v[7:8], v[7:8], v[16:17]
.LBB24_14:
	s_or_b64 exec, exec, s[2:3]
.LBB24_15:
	s_or_b64 exec, exec, s[0:1]
	v_cmp_lt_u32_e32 vcc, 7, v0
	s_barrier
	ds_write_b128 v10, v[5:8]
	s_waitcnt lgkmcnt(0)
	s_barrier
	s_and_saveexec_b64 s[0:1], vcc
	s_cbranch_execz .LBB24_19
; %bb.16:
	v_subrev_u32_e32 v11, 32, v9
	ds_read_b32 v11, v11
	s_waitcnt lgkmcnt(0)
	v_cmp_eq_u32_e32 vcc, v13, v11
	s_and_saveexec_b64 s[2:3], vcc
	s_cbranch_execz .LBB24_18
; %bb.17:
	v_add_u32_e32 v11, 0xffffff80, v10
	ds_read_b128 v[14:17], v11
	s_waitcnt lgkmcnt(0)
	v_add_f64 v[5:6], v[5:6], v[14:15]
	v_add_f64 v[7:8], v[7:8], v[16:17]
.LBB24_18:
	s_or_b64 exec, exec, s[2:3]
.LBB24_19:
	s_or_b64 exec, exec, s[0:1]
	v_cmp_lt_u32_e32 vcc, 15, v0
	s_barrier
	ds_write_b128 v10, v[5:8]
	s_waitcnt lgkmcnt(0)
	s_barrier
	s_and_saveexec_b64 s[0:1], vcc
	s_cbranch_execz .LBB24_23
; %bb.20:
	v_subrev_u32_e32 v11, 64, v9
	ds_read_b32 v11, v11
	s_waitcnt lgkmcnt(0)
	v_cmp_eq_u32_e32 vcc, v13, v11
	s_and_saveexec_b64 s[2:3], vcc
	s_cbranch_execz .LBB24_22
; %bb.21:
	v_add_u32_e32 v11, 0xffffff00, v10
	ds_read_b128 v[14:17], v11
	s_waitcnt lgkmcnt(0)
	v_add_f64 v[5:6], v[5:6], v[14:15]
	v_add_f64 v[7:8], v[7:8], v[16:17]
.LBB24_22:
	s_or_b64 exec, exec, s[2:3]
.LBB24_23:
	s_or_b64 exec, exec, s[0:1]
	v_cmp_lt_u32_e32 vcc, 31, v0
	s_barrier
	ds_write_b128 v10, v[5:8]
	s_waitcnt lgkmcnt(0)
	s_barrier
	s_and_saveexec_b64 s[0:1], vcc
	s_cbranch_execz .LBB24_27
; %bb.24:
	v_add_u32_e32 v11, 0xffffff80, v9
	ds_read_b32 v11, v11
	s_waitcnt lgkmcnt(0)
	v_cmp_eq_u32_e32 vcc, v13, v11
	s_and_saveexec_b64 s[2:3], vcc
	s_cbranch_execz .LBB24_26
; %bb.25:
	v_add_u32_e32 v11, 0xfffffe00, v10
	ds_read_b128 v[14:17], v11
	s_waitcnt lgkmcnt(0)
	v_add_f64 v[5:6], v[5:6], v[14:15]
	v_add_f64 v[7:8], v[7:8], v[16:17]
.LBB24_26:
	s_or_b64 exec, exec, s[2:3]
.LBB24_27:
	s_or_b64 exec, exec, s[0:1]
	v_cmp_lt_u32_e32 vcc, 63, v0
	s_barrier
	ds_write_b128 v10, v[5:8]
	s_waitcnt lgkmcnt(0)
	s_barrier
	s_and_saveexec_b64 s[0:1], vcc
	s_cbranch_execz .LBB24_31
; %bb.28:
	v_add_u32_e32 v11, 0xffffff00, v9
	ds_read_b32 v11, v11
	s_waitcnt lgkmcnt(0)
	v_cmp_eq_u32_e32 vcc, v13, v11
	s_and_saveexec_b64 s[2:3], vcc
	s_cbranch_execz .LBB24_30
; %bb.29:
	v_add_u32_e32 v11, 0xfffffc00, v10
	ds_read_b128 v[14:17], v11
	s_waitcnt lgkmcnt(0)
	v_add_f64 v[5:6], v[5:6], v[14:15]
	v_add_f64 v[7:8], v[7:8], v[16:17]
.LBB24_30:
	s_or_b64 exec, exec, s[2:3]
.LBB24_31:
	s_or_b64 exec, exec, s[0:1]
	s_load_dwordx2 s[2:3], s[4:5], 0x30
	s_movk_i32 s0, 0x7f
	v_cmp_lt_u32_e32 vcc, s0, v0
	s_waitcnt lgkmcnt(0)
	s_barrier
	ds_write_b128 v10, v[5:8]
	s_waitcnt lgkmcnt(0)
	s_barrier
	s_and_saveexec_b64 s[0:1], vcc
	s_cbranch_execz .LBB24_35
; %bb.32:
	v_add_u32_e32 v11, 0xfffffe00, v9
	ds_read_b32 v11, v11
	s_waitcnt lgkmcnt(0)
	v_cmp_eq_u32_e32 vcc, v13, v11
	s_and_saveexec_b64 s[4:5], vcc
	s_cbranch_execz .LBB24_34
; %bb.33:
	v_add_u32_e32 v11, 0xfffff800, v10
	ds_read_b128 v[14:17], v11
	s_waitcnt lgkmcnt(0)
	v_add_f64 v[5:6], v[5:6], v[14:15]
	v_add_f64 v[7:8], v[7:8], v[16:17]
.LBB24_34:
	s_or_b64 exec, exec, s[4:5]
.LBB24_35:
	s_or_b64 exec, exec, s[0:1]
	s_movk_i32 s6, 0xff
	v_cmp_gt_u32_e32 vcc, s6, v0
	s_barrier
	ds_write_b128 v10, v[5:8]
	s_waitcnt lgkmcnt(0)
	s_barrier
	s_and_saveexec_b64 s[4:5], vcc
	s_cbranch_execz .LBB24_41
; %bb.36:
	ds_read_b32 v9, v9 offset:4
	v_cmp_lt_i32_e64 s[0:1], -1, v13
	s_waitcnt lgkmcnt(0)
	v_cmp_ne_u32_e32 vcc, v13, v9
	s_and_b64 s[0:1], s[0:1], vcc
	s_and_b64 exec, exec, s[0:1]
	s_cbranch_execz .LBB24_41
; %bb.37:
	v_mov_b32_e32 v14, 0
	v_lshlrev_b64 v[9:10], 4, v[13:14]
	v_mov_b32_e32 v11, s3
	v_add_co_u32_e32 v14, vcc, s2, v9
	v_addc_co_u32_e32 v15, vcc, v11, v10, vcc
	global_load_dwordx2 v[11:12], v[14:15], off
	v_mul_f64 v[9:10], v[7:8], -v[3:4]
	s_mov_b64 s[0:1], 0
	v_fma_f64 v[16:17], v[1:2], v[5:6], v[9:10]
.LBB24_38:                              ; =>This Inner Loop Header: Depth=1
	s_waitcnt vmcnt(0)
	v_add_f64 v[9:10], v[11:12], v[16:17]
	global_atomic_cmpswap_x2 v[9:10], v[14:15], v[9:12], off glc
	s_waitcnt vmcnt(0)
	v_cmp_eq_u64_e32 vcc, v[9:10], v[11:12]
	v_mov_b32_e32 v12, v10
	s_or_b64 s[0:1], vcc, s[0:1]
	v_mov_b32_e32 v11, v9
	s_andn2_b64 exec, exec, s[0:1]
	s_cbranch_execnz .LBB24_38
; %bb.39:
	s_or_b64 exec, exec, s[0:1]
	global_load_dwordx2 v[11:12], v[14:15], off offset:8
	v_mul_f64 v[9:10], v[1:2], v[7:8]
	s_mov_b64 s[0:1], 0
	v_fma_f64 v[16:17], v[3:4], v[5:6], v[9:10]
.LBB24_40:                              ; =>This Inner Loop Header: Depth=1
	s_waitcnt vmcnt(0)
	v_add_f64 v[9:10], v[11:12], v[16:17]
	global_atomic_cmpswap_x2 v[9:10], v[14:15], v[9:12], off offset:8 glc
	s_waitcnt vmcnt(0)
	v_cmp_eq_u64_e32 vcc, v[9:10], v[11:12]
	v_mov_b32_e32 v12, v10
	s_or_b64 s[0:1], vcc, s[0:1]
	v_mov_b32_e32 v11, v9
	s_andn2_b64 exec, exec, s[0:1]
	s_cbranch_execnz .LBB24_40
.LBB24_41:
	s_or_b64 exec, exec, s[4:5]
	v_cmp_eq_u32_e32 vcc, s6, v0
	v_cmp_lt_i32_e64 s[0:1], -1, v13
	s_and_b64 s[0:1], vcc, s[0:1]
	s_and_b64 exec, exec, s[0:1]
	s_cbranch_execz .LBB24_46
; %bb.42:
	v_mov_b32_e32 v14, 0
	v_lshlrev_b64 v[9:10], 4, v[13:14]
	v_mov_b32_e32 v0, s3
	v_add_co_u32_e32 v13, vcc, s2, v9
	v_addc_co_u32_e32 v14, vcc, v0, v10, vcc
	global_load_dwordx2 v[11:12], v[13:14], off
	v_mul_f64 v[9:10], v[7:8], -v[3:4]
	s_mov_b64 s[0:1], 0
	v_fma_f64 v[15:16], v[1:2], v[5:6], v[9:10]
.LBB24_43:                              ; =>This Inner Loop Header: Depth=1
	s_waitcnt vmcnt(0)
	v_add_f64 v[9:10], v[11:12], v[15:16]
	global_atomic_cmpswap_x2 v[9:10], v[13:14], v[9:12], off glc
	s_waitcnt vmcnt(0)
	v_cmp_eq_u64_e32 vcc, v[9:10], v[11:12]
	v_mov_b32_e32 v12, v10
	s_or_b64 s[0:1], vcc, s[0:1]
	v_mov_b32_e32 v11, v9
	s_andn2_b64 exec, exec, s[0:1]
	s_cbranch_execnz .LBB24_43
; %bb.44:
	s_or_b64 exec, exec, s[0:1]
	global_load_dwordx2 v[9:10], v[13:14], off offset:8
	v_mul_f64 v[0:1], v[1:2], v[7:8]
	s_mov_b64 s[0:1], 0
	v_fma_f64 v[0:1], v[3:4], v[5:6], v[0:1]
.LBB24_45:                              ; =>This Inner Loop Header: Depth=1
	s_waitcnt vmcnt(0)
	v_add_f64 v[7:8], v[9:10], v[0:1]
	global_atomic_cmpswap_x2 v[2:3], v[13:14], v[7:10], off offset:8 glc
	s_waitcnt vmcnt(0)
	v_cmp_eq_u64_e32 vcc, v[2:3], v[9:10]
	v_mov_b32_e32 v10, v3
	s_or_b64 s[0:1], vcc, s[0:1]
	v_mov_b32_e32 v9, v2
	s_andn2_b64 exec, exec, s[0:1]
	s_cbranch_execnz .LBB24_45
.LBB24_46:
	s_endpgm
	.section	.rodata,"a",@progbits
	.p2align	6, 0x0
	.amdhsa_kernel _ZN9rocsparseL23coomvn_aos_atomic_loopsILj256ELj1Ei21rocsparse_complex_numIdES2_S2_S2_EEvlNS_24const_host_device_scalarIT5_EEPKT1_PKT2_PKT3_PT4_21rocsparse_index_base_b
		.amdhsa_group_segment_fixed_size 5120
		.amdhsa_private_segment_fixed_size 0
		.amdhsa_kernarg_size 64
		.amdhsa_user_sgpr_count 6
		.amdhsa_user_sgpr_private_segment_buffer 1
		.amdhsa_user_sgpr_dispatch_ptr 0
		.amdhsa_user_sgpr_queue_ptr 0
		.amdhsa_user_sgpr_kernarg_segment_ptr 1
		.amdhsa_user_sgpr_dispatch_id 0
		.amdhsa_user_sgpr_flat_scratch_init 0
		.amdhsa_user_sgpr_private_segment_size 0
		.amdhsa_uses_dynamic_stack 0
		.amdhsa_system_sgpr_private_segment_wavefront_offset 0
		.amdhsa_system_sgpr_workgroup_id_x 1
		.amdhsa_system_sgpr_workgroup_id_y 0
		.amdhsa_system_sgpr_workgroup_id_z 0
		.amdhsa_system_sgpr_workgroup_info 0
		.amdhsa_system_vgpr_workitem_id 0
		.amdhsa_next_free_vgpr 18
		.amdhsa_next_free_sgpr 12
		.amdhsa_reserve_vcc 1
		.amdhsa_reserve_flat_scratch 0
		.amdhsa_float_round_mode_32 0
		.amdhsa_float_round_mode_16_64 0
		.amdhsa_float_denorm_mode_32 3
		.amdhsa_float_denorm_mode_16_64 3
		.amdhsa_dx10_clamp 1
		.amdhsa_ieee_mode 1
		.amdhsa_fp16_overflow 0
		.amdhsa_exception_fp_ieee_invalid_op 0
		.amdhsa_exception_fp_denorm_src 0
		.amdhsa_exception_fp_ieee_div_zero 0
		.amdhsa_exception_fp_ieee_overflow 0
		.amdhsa_exception_fp_ieee_underflow 0
		.amdhsa_exception_fp_ieee_inexact 0
		.amdhsa_exception_int_div_zero 0
	.end_amdhsa_kernel
	.section	.text._ZN9rocsparseL23coomvn_aos_atomic_loopsILj256ELj1Ei21rocsparse_complex_numIdES2_S2_S2_EEvlNS_24const_host_device_scalarIT5_EEPKT1_PKT2_PKT3_PT4_21rocsparse_index_base_b,"axG",@progbits,_ZN9rocsparseL23coomvn_aos_atomic_loopsILj256ELj1Ei21rocsparse_complex_numIdES2_S2_S2_EEvlNS_24const_host_device_scalarIT5_EEPKT1_PKT2_PKT3_PT4_21rocsparse_index_base_b,comdat
.Lfunc_end24:
	.size	_ZN9rocsparseL23coomvn_aos_atomic_loopsILj256ELj1Ei21rocsparse_complex_numIdES2_S2_S2_EEvlNS_24const_host_device_scalarIT5_EEPKT1_PKT2_PKT3_PT4_21rocsparse_index_base_b, .Lfunc_end24-_ZN9rocsparseL23coomvn_aos_atomic_loopsILj256ELj1Ei21rocsparse_complex_numIdES2_S2_S2_EEvlNS_24const_host_device_scalarIT5_EEPKT1_PKT2_PKT3_PT4_21rocsparse_index_base_b
                                        ; -- End function
	.set _ZN9rocsparseL23coomvn_aos_atomic_loopsILj256ELj1Ei21rocsparse_complex_numIdES2_S2_S2_EEvlNS_24const_host_device_scalarIT5_EEPKT1_PKT2_PKT3_PT4_21rocsparse_index_base_b.num_vgpr, 18
	.set _ZN9rocsparseL23coomvn_aos_atomic_loopsILj256ELj1Ei21rocsparse_complex_numIdES2_S2_S2_EEvlNS_24const_host_device_scalarIT5_EEPKT1_PKT2_PKT3_PT4_21rocsparse_index_base_b.num_agpr, 0
	.set _ZN9rocsparseL23coomvn_aos_atomic_loopsILj256ELj1Ei21rocsparse_complex_numIdES2_S2_S2_EEvlNS_24const_host_device_scalarIT5_EEPKT1_PKT2_PKT3_PT4_21rocsparse_index_base_b.numbered_sgpr, 12
	.set _ZN9rocsparseL23coomvn_aos_atomic_loopsILj256ELj1Ei21rocsparse_complex_numIdES2_S2_S2_EEvlNS_24const_host_device_scalarIT5_EEPKT1_PKT2_PKT3_PT4_21rocsparse_index_base_b.num_named_barrier, 0
	.set _ZN9rocsparseL23coomvn_aos_atomic_loopsILj256ELj1Ei21rocsparse_complex_numIdES2_S2_S2_EEvlNS_24const_host_device_scalarIT5_EEPKT1_PKT2_PKT3_PT4_21rocsparse_index_base_b.private_seg_size, 0
	.set _ZN9rocsparseL23coomvn_aos_atomic_loopsILj256ELj1Ei21rocsparse_complex_numIdES2_S2_S2_EEvlNS_24const_host_device_scalarIT5_EEPKT1_PKT2_PKT3_PT4_21rocsparse_index_base_b.uses_vcc, 1
	.set _ZN9rocsparseL23coomvn_aos_atomic_loopsILj256ELj1Ei21rocsparse_complex_numIdES2_S2_S2_EEvlNS_24const_host_device_scalarIT5_EEPKT1_PKT2_PKT3_PT4_21rocsparse_index_base_b.uses_flat_scratch, 0
	.set _ZN9rocsparseL23coomvn_aos_atomic_loopsILj256ELj1Ei21rocsparse_complex_numIdES2_S2_S2_EEvlNS_24const_host_device_scalarIT5_EEPKT1_PKT2_PKT3_PT4_21rocsparse_index_base_b.has_dyn_sized_stack, 0
	.set _ZN9rocsparseL23coomvn_aos_atomic_loopsILj256ELj1Ei21rocsparse_complex_numIdES2_S2_S2_EEvlNS_24const_host_device_scalarIT5_EEPKT1_PKT2_PKT3_PT4_21rocsparse_index_base_b.has_recursion, 0
	.set _ZN9rocsparseL23coomvn_aos_atomic_loopsILj256ELj1Ei21rocsparse_complex_numIdES2_S2_S2_EEvlNS_24const_host_device_scalarIT5_EEPKT1_PKT2_PKT3_PT4_21rocsparse_index_base_b.has_indirect_call, 0
	.section	.AMDGPU.csdata,"",@progbits
; Kernel info:
; codeLenInByte = 1616
; TotalNumSgprs: 16
; NumVgprs: 18
; ScratchSize: 0
; MemoryBound: 0
; FloatMode: 240
; IeeeMode: 1
; LDSByteSize: 5120 bytes/workgroup (compile time only)
; SGPRBlocks: 1
; VGPRBlocks: 4
; NumSGPRsForWavesPerEU: 16
; NumVGPRsForWavesPerEU: 18
; Occupancy: 10
; WaveLimiterHint : 1
; COMPUTE_PGM_RSRC2:SCRATCH_EN: 0
; COMPUTE_PGM_RSRC2:USER_SGPR: 6
; COMPUTE_PGM_RSRC2:TRAP_HANDLER: 0
; COMPUTE_PGM_RSRC2:TGID_X_EN: 1
; COMPUTE_PGM_RSRC2:TGID_Y_EN: 0
; COMPUTE_PGM_RSRC2:TGID_Z_EN: 0
; COMPUTE_PGM_RSRC2:TIDIG_COMP_CNT: 0
	.section	.text._ZN9rocsparseL17coomvt_aos_kernelILj1024Ei21rocsparse_complex_numIdES2_S2_S2_EEv20rocsparse_operation_lNS_24const_host_device_scalarIT4_EEPKT0_PKT1_PKT2_PT3_21rocsparse_index_base_b,"axG",@progbits,_ZN9rocsparseL17coomvt_aos_kernelILj1024Ei21rocsparse_complex_numIdES2_S2_S2_EEv20rocsparse_operation_lNS_24const_host_device_scalarIT4_EEPKT0_PKT1_PKT2_PT3_21rocsparse_index_base_b,comdat
	.globl	_ZN9rocsparseL17coomvt_aos_kernelILj1024Ei21rocsparse_complex_numIdES2_S2_S2_EEv20rocsparse_operation_lNS_24const_host_device_scalarIT4_EEPKT0_PKT1_PKT2_PT3_21rocsparse_index_base_b ; -- Begin function _ZN9rocsparseL17coomvt_aos_kernelILj1024Ei21rocsparse_complex_numIdES2_S2_S2_EEv20rocsparse_operation_lNS_24const_host_device_scalarIT4_EEPKT0_PKT1_PKT2_PT3_21rocsparse_index_base_b
	.p2align	8
	.type	_ZN9rocsparseL17coomvt_aos_kernelILj1024Ei21rocsparse_complex_numIdES2_S2_S2_EEv20rocsparse_operation_lNS_24const_host_device_scalarIT4_EEPKT0_PKT1_PKT2_PT3_21rocsparse_index_base_b,@function
_ZN9rocsparseL17coomvt_aos_kernelILj1024Ei21rocsparse_complex_numIdES2_S2_S2_EEv20rocsparse_operation_lNS_24const_host_device_scalarIT4_EEPKT0_PKT1_PKT2_PT3_21rocsparse_index_base_b: ; @_ZN9rocsparseL17coomvt_aos_kernelILj1024Ei21rocsparse_complex_numIdES2_S2_S2_EEv20rocsparse_operation_lNS_24const_host_device_scalarIT4_EEPKT0_PKT1_PKT2_PT3_21rocsparse_index_base_b
; %bb.0:
	s_load_dwordx2 s[2:3], s[4:5], 0x40
	s_load_dwordx4 s[8:11], s[4:5], 0x8
	s_add_u32 s0, s4, 16
	s_addc_u32 s1, s5, 0
	s_waitcnt lgkmcnt(0)
	s_bitcmp1_b32 s3, 0
	s_cselect_b32 s1, s1, s11
	s_cselect_b32 s0, s0, s10
	v_mov_b32_e32 v1, s0
	v_mov_b32_e32 v2, s1
	flat_load_dwordx4 v[1:4], v[1:2]
	s_waitcnt vmcnt(0) lgkmcnt(0)
	v_cmp_neq_f64_e32 vcc, 0, v[1:2]
	v_cmp_neq_f64_e64 s[0:1], 0, v[3:4]
	s_or_b64 s[0:1], vcc, s[0:1]
	s_and_saveexec_b64 s[10:11], s[0:1]
	s_cbranch_execz .LBB25_6
; %bb.1:
	s_load_dword s0, s[4:5], 0x54
	v_mov_b32_e32 v6, 0
	s_waitcnt lgkmcnt(0)
	s_and_b32 s0, s0, 0xffff
	s_mul_i32 s6, s6, s0
	v_add_u32_e32 v5, s6, v0
	v_cmp_gt_i64_e32 vcc, s[8:9], v[5:6]
	s_and_b64 exec, exec, vcc
	s_cbranch_execz .LBB25_6
; %bb.2:
	s_load_dwordx8 s[8:15], s[4:5], 0x20
	v_lshlrev_b64 v[7:8], 3, v[5:6]
	v_lshlrev_b64 v[5:6], 4, v[5:6]
	s_load_dword s0, s[4:5], 0x0
	s_waitcnt lgkmcnt(0)
	v_mov_b32_e32 v0, s9
	v_add_co_u32_e32 v7, vcc, s8, v7
	v_addc_co_u32_e32 v8, vcc, v0, v8, vcc
	v_mov_b32_e32 v0, s11
	v_add_co_u32_e32 v5, vcc, s10, v5
	v_addc_co_u32_e32 v6, vcc, v0, v6, vcc
	global_load_dwordx2 v[7:8], v[7:8], off
	s_cmpk_eq_i32 s0, 0x71
	global_load_dwordx4 v[13:16], v[5:6], off
	s_cselect_b64 vcc, -1, 0
	v_mov_b32_e32 v0, s13
	s_mov_b64 s[0:1], 0
	s_waitcnt vmcnt(1)
	v_subrev_u32_e32 v5, s2, v7
	v_subrev_u32_e32 v7, s2, v8
	s_waitcnt vmcnt(0)
	v_xor_b32_e32 v6, 0x80000000, v16
	v_cndmask_b32_e32 v16, v16, v6, vcc
	v_ashrrev_i32_e32 v6, 31, v5
	v_lshlrev_b64 v[5:6], 4, v[5:6]
	v_ashrrev_i32_e32 v8, 31, v7
	v_add_co_u32_e32 v5, vcc, s12, v5
	v_addc_co_u32_e32 v6, vcc, v0, v6, vcc
	v_lshlrev_b64 v[9:10], 4, v[7:8]
	global_load_dwordx4 v[5:8], v[5:6], off
	v_mul_f64 v[11:12], v[15:16], -v[3:4]
	v_mul_f64 v[15:16], v[1:2], v[15:16]
	v_mov_b32_e32 v0, s15
	v_add_co_u32_e32 v9, vcc, s14, v9
	v_addc_co_u32_e32 v10, vcc, v0, v10, vcc
	v_fma_f64 v[11:12], v[1:2], v[13:14], v[11:12]
	v_fma_f64 v[13:14], v[3:4], v[13:14], v[15:16]
	global_load_dwordx2 v[2:3], v[9:10], off
	s_waitcnt vmcnt(1)
	v_mul_f64 v[0:1], v[7:8], -v[13:14]
	v_fma_f64 v[15:16], v[11:12], v[5:6], v[0:1]
.LBB25_3:                               ; =>This Inner Loop Header: Depth=1
	s_waitcnt vmcnt(0)
	v_add_f64 v[0:1], v[2:3], v[15:16]
	global_atomic_cmpswap_x2 v[0:1], v[9:10], v[0:3], off glc
	s_waitcnt vmcnt(0)
	v_cmp_eq_u64_e32 vcc, v[0:1], v[2:3]
	v_mov_b32_e32 v3, v1
	s_or_b64 s[0:1], vcc, s[0:1]
	v_mov_b32_e32 v2, v0
	s_andn2_b64 exec, exec, s[0:1]
	s_cbranch_execnz .LBB25_3
; %bb.4:
	s_or_b64 exec, exec, s[0:1]
	global_load_dwordx2 v[2:3], v[9:10], off offset:8
	v_mul_f64 v[0:1], v[11:12], v[7:8]
	s_mov_b64 s[0:1], 0
	v_fma_f64 v[4:5], v[13:14], v[5:6], v[0:1]
.LBB25_5:                               ; =>This Inner Loop Header: Depth=1
	s_waitcnt vmcnt(0)
	v_add_f64 v[0:1], v[2:3], v[4:5]
	global_atomic_cmpswap_x2 v[0:1], v[9:10], v[0:3], off offset:8 glc
	s_waitcnt vmcnt(0)
	v_cmp_eq_u64_e32 vcc, v[0:1], v[2:3]
	v_mov_b32_e32 v3, v1
	s_or_b64 s[0:1], vcc, s[0:1]
	v_mov_b32_e32 v2, v0
	s_andn2_b64 exec, exec, s[0:1]
	s_cbranch_execnz .LBB25_5
.LBB25_6:
	s_endpgm
	.section	.rodata,"a",@progbits
	.p2align	6, 0x0
	.amdhsa_kernel _ZN9rocsparseL17coomvt_aos_kernelILj1024Ei21rocsparse_complex_numIdES2_S2_S2_EEv20rocsparse_operation_lNS_24const_host_device_scalarIT4_EEPKT0_PKT1_PKT2_PT3_21rocsparse_index_base_b
		.amdhsa_group_segment_fixed_size 0
		.amdhsa_private_segment_fixed_size 0
		.amdhsa_kernarg_size 328
		.amdhsa_user_sgpr_count 6
		.amdhsa_user_sgpr_private_segment_buffer 1
		.amdhsa_user_sgpr_dispatch_ptr 0
		.amdhsa_user_sgpr_queue_ptr 0
		.amdhsa_user_sgpr_kernarg_segment_ptr 1
		.amdhsa_user_sgpr_dispatch_id 0
		.amdhsa_user_sgpr_flat_scratch_init 0
		.amdhsa_user_sgpr_private_segment_size 0
		.amdhsa_uses_dynamic_stack 0
		.amdhsa_system_sgpr_private_segment_wavefront_offset 0
		.amdhsa_system_sgpr_workgroup_id_x 1
		.amdhsa_system_sgpr_workgroup_id_y 0
		.amdhsa_system_sgpr_workgroup_id_z 0
		.amdhsa_system_sgpr_workgroup_info 0
		.amdhsa_system_vgpr_workitem_id 0
		.amdhsa_next_free_vgpr 17
		.amdhsa_next_free_sgpr 16
		.amdhsa_reserve_vcc 1
		.amdhsa_reserve_flat_scratch 0
		.amdhsa_float_round_mode_32 0
		.amdhsa_float_round_mode_16_64 0
		.amdhsa_float_denorm_mode_32 3
		.amdhsa_float_denorm_mode_16_64 3
		.amdhsa_dx10_clamp 1
		.amdhsa_ieee_mode 1
		.amdhsa_fp16_overflow 0
		.amdhsa_exception_fp_ieee_invalid_op 0
		.amdhsa_exception_fp_denorm_src 0
		.amdhsa_exception_fp_ieee_div_zero 0
		.amdhsa_exception_fp_ieee_overflow 0
		.amdhsa_exception_fp_ieee_underflow 0
		.amdhsa_exception_fp_ieee_inexact 0
		.amdhsa_exception_int_div_zero 0
	.end_amdhsa_kernel
	.section	.text._ZN9rocsparseL17coomvt_aos_kernelILj1024Ei21rocsparse_complex_numIdES2_S2_S2_EEv20rocsparse_operation_lNS_24const_host_device_scalarIT4_EEPKT0_PKT1_PKT2_PT3_21rocsparse_index_base_b,"axG",@progbits,_ZN9rocsparseL17coomvt_aos_kernelILj1024Ei21rocsparse_complex_numIdES2_S2_S2_EEv20rocsparse_operation_lNS_24const_host_device_scalarIT4_EEPKT0_PKT1_PKT2_PT3_21rocsparse_index_base_b,comdat
.Lfunc_end25:
	.size	_ZN9rocsparseL17coomvt_aos_kernelILj1024Ei21rocsparse_complex_numIdES2_S2_S2_EEv20rocsparse_operation_lNS_24const_host_device_scalarIT4_EEPKT0_PKT1_PKT2_PT3_21rocsparse_index_base_b, .Lfunc_end25-_ZN9rocsparseL17coomvt_aos_kernelILj1024Ei21rocsparse_complex_numIdES2_S2_S2_EEv20rocsparse_operation_lNS_24const_host_device_scalarIT4_EEPKT0_PKT1_PKT2_PT3_21rocsparse_index_base_b
                                        ; -- End function
	.set _ZN9rocsparseL17coomvt_aos_kernelILj1024Ei21rocsparse_complex_numIdES2_S2_S2_EEv20rocsparse_operation_lNS_24const_host_device_scalarIT4_EEPKT0_PKT1_PKT2_PT3_21rocsparse_index_base_b.num_vgpr, 17
	.set _ZN9rocsparseL17coomvt_aos_kernelILj1024Ei21rocsparse_complex_numIdES2_S2_S2_EEv20rocsparse_operation_lNS_24const_host_device_scalarIT4_EEPKT0_PKT1_PKT2_PT3_21rocsparse_index_base_b.num_agpr, 0
	.set _ZN9rocsparseL17coomvt_aos_kernelILj1024Ei21rocsparse_complex_numIdES2_S2_S2_EEv20rocsparse_operation_lNS_24const_host_device_scalarIT4_EEPKT0_PKT1_PKT2_PT3_21rocsparse_index_base_b.numbered_sgpr, 16
	.set _ZN9rocsparseL17coomvt_aos_kernelILj1024Ei21rocsparse_complex_numIdES2_S2_S2_EEv20rocsparse_operation_lNS_24const_host_device_scalarIT4_EEPKT0_PKT1_PKT2_PT3_21rocsparse_index_base_b.num_named_barrier, 0
	.set _ZN9rocsparseL17coomvt_aos_kernelILj1024Ei21rocsparse_complex_numIdES2_S2_S2_EEv20rocsparse_operation_lNS_24const_host_device_scalarIT4_EEPKT0_PKT1_PKT2_PT3_21rocsparse_index_base_b.private_seg_size, 0
	.set _ZN9rocsparseL17coomvt_aos_kernelILj1024Ei21rocsparse_complex_numIdES2_S2_S2_EEv20rocsparse_operation_lNS_24const_host_device_scalarIT4_EEPKT0_PKT1_PKT2_PT3_21rocsparse_index_base_b.uses_vcc, 1
	.set _ZN9rocsparseL17coomvt_aos_kernelILj1024Ei21rocsparse_complex_numIdES2_S2_S2_EEv20rocsparse_operation_lNS_24const_host_device_scalarIT4_EEPKT0_PKT1_PKT2_PT3_21rocsparse_index_base_b.uses_flat_scratch, 0
	.set _ZN9rocsparseL17coomvt_aos_kernelILj1024Ei21rocsparse_complex_numIdES2_S2_S2_EEv20rocsparse_operation_lNS_24const_host_device_scalarIT4_EEPKT0_PKT1_PKT2_PT3_21rocsparse_index_base_b.has_dyn_sized_stack, 0
	.set _ZN9rocsparseL17coomvt_aos_kernelILj1024Ei21rocsparse_complex_numIdES2_S2_S2_EEv20rocsparse_operation_lNS_24const_host_device_scalarIT4_EEPKT0_PKT1_PKT2_PT3_21rocsparse_index_base_b.has_recursion, 0
	.set _ZN9rocsparseL17coomvt_aos_kernelILj1024Ei21rocsparse_complex_numIdES2_S2_S2_EEv20rocsparse_operation_lNS_24const_host_device_scalarIT4_EEPKT0_PKT1_PKT2_PT3_21rocsparse_index_base_b.has_indirect_call, 0
	.section	.AMDGPU.csdata,"",@progbits
; Kernel info:
; codeLenInByte = 492
; TotalNumSgprs: 20
; NumVgprs: 17
; ScratchSize: 0
; MemoryBound: 0
; FloatMode: 240
; IeeeMode: 1
; LDSByteSize: 0 bytes/workgroup (compile time only)
; SGPRBlocks: 2
; VGPRBlocks: 4
; NumSGPRsForWavesPerEU: 20
; NumVGPRsForWavesPerEU: 17
; Occupancy: 10
; WaveLimiterHint : 1
; COMPUTE_PGM_RSRC2:SCRATCH_EN: 0
; COMPUTE_PGM_RSRC2:USER_SGPR: 6
; COMPUTE_PGM_RSRC2:TRAP_HANDLER: 0
; COMPUTE_PGM_RSRC2:TGID_X_EN: 1
; COMPUTE_PGM_RSRC2:TGID_Y_EN: 0
; COMPUTE_PGM_RSRC2:TGID_Z_EN: 0
; COMPUTE_PGM_RSRC2:TIDIG_COMP_CNT: 0
	.section	.text._ZN9rocsparseL26coomvn_aos_segmented_loopsILj256Ei21rocsparse_complex_numIdES2_S2_S2_EEvlT0_NS_24const_host_device_scalarIT4_EEPKS3_PKT1_PKT2_PT3_PS3_PS5_21rocsparse_index_base_b,"axG",@progbits,_ZN9rocsparseL26coomvn_aos_segmented_loopsILj256Ei21rocsparse_complex_numIdES2_S2_S2_EEvlT0_NS_24const_host_device_scalarIT4_EEPKS3_PKT1_PKT2_PT3_PS3_PS5_21rocsparse_index_base_b,comdat
	.globl	_ZN9rocsparseL26coomvn_aos_segmented_loopsILj256Ei21rocsparse_complex_numIdES2_S2_S2_EEvlT0_NS_24const_host_device_scalarIT4_EEPKS3_PKT1_PKT2_PT3_PS3_PS5_21rocsparse_index_base_b ; -- Begin function _ZN9rocsparseL26coomvn_aos_segmented_loopsILj256Ei21rocsparse_complex_numIdES2_S2_S2_EEvlT0_NS_24const_host_device_scalarIT4_EEPKS3_PKT1_PKT2_PT3_PS3_PS5_21rocsparse_index_base_b
	.p2align	8
	.type	_ZN9rocsparseL26coomvn_aos_segmented_loopsILj256Ei21rocsparse_complex_numIdES2_S2_S2_EEvlT0_NS_24const_host_device_scalarIT4_EEPKS3_PKT1_PKT2_PT3_PS3_PS5_21rocsparse_index_base_b,@function
_ZN9rocsparseL26coomvn_aos_segmented_loopsILj256Ei21rocsparse_complex_numIdES2_S2_S2_EEvlT0_NS_24const_host_device_scalarIT4_EEPKS3_PKT1_PKT2_PT3_PS3_PS5_21rocsparse_index_base_b: ; @_ZN9rocsparseL26coomvn_aos_segmented_loopsILj256Ei21rocsparse_complex_numIdES2_S2_S2_EEvlT0_NS_24const_host_device_scalarIT4_EEPKS3_PKT1_PKT2_PT3_PS3_PS5_21rocsparse_index_base_b
; %bb.0:
	s_load_dwordx2 s[34:35], s[4:5], 0x50
	s_load_dwordx2 s[0:1], s[4:5], 0x10
	s_add_u32 s2, s4, 16
	s_addc_u32 s3, s5, 0
	s_waitcnt lgkmcnt(0)
	s_bitcmp1_b32 s35, 0
	s_cselect_b32 s1, s3, s1
	s_cselect_b32 s0, s2, s0
	v_mov_b32_e32 v1, s0
	v_mov_b32_e32 v2, s1
	flat_load_dwordx4 v[1:4], v[1:2]
	s_waitcnt vmcnt(0) lgkmcnt(0)
	v_cmp_neq_f64_e32 vcc, 0, v[1:2]
	v_cmp_neq_f64_e64 s[0:1], 0, v[3:4]
	s_or_b64 s[0:1], vcc, s[0:1]
	s_and_saveexec_b64 s[2:3], s[0:1]
	s_cbranch_execz .LBB26_87
; %bb.1:
	s_load_dword s42, s[4:5], 0x8
	s_load_dwordx2 s[36:37], s[4:5], 0x0
	s_load_dwordx4 s[28:31], s[4:5], 0x20
	s_load_dwordx2 s[40:41], s[4:5], 0x30
	v_mov_b32_e32 v5, 0
	s_waitcnt lgkmcnt(0)
	s_mul_i32 s0, s6, s42
	v_mov_b32_e32 v16, 0
	v_lshl_or_b32 v15, s0, 8, v0
	v_mov_b32_e32 v6, 0
	v_cmp_gt_i64_e32 vcc, s[36:37], v[15:16]
	v_lshlrev_b64 v[11:12], 3, v[15:16]
	v_lshlrev_b64 v[13:14], 4, v[15:16]
	v_mov_b32_e32 v8, v6
	v_mov_b32_e32 v9, -1
	v_mov_b32_e32 v7, v5
	s_and_saveexec_b64 s[0:1], vcc
	s_cbranch_execz .LBB26_3
; %bb.2:
	v_mov_b32_e32 v6, s29
	v_add_co_u32_e32 v5, vcc, s28, v11
	v_addc_co_u32_e32 v6, vcc, v6, v12, vcc
	global_load_dwordx2 v[9:10], v[5:6], off glc slc
	v_mov_b32_e32 v6, s31
	v_add_co_u32_e32 v5, vcc, s30, v13
	v_addc_co_u32_e32 v6, vcc, v6, v14, vcc
	v_mov_b32_e32 v18, s41
	s_ashr_i32 s35, s34, 31
	s_lshl_b64 s[2:3], s[34:35], 4
	v_mov_b32_e32 v19, s3
	global_load_dwordx4 v[5:8], v[5:6], off glc slc
	s_waitcnt vmcnt(1)
	v_ashrrev_i32_e32 v17, 31, v10
	v_mov_b32_e32 v16, v10
	v_lshlrev_b64 v[16:17], 4, v[16:17]
	v_subrev_u32_e32 v9, s34, v9
	v_add_co_u32_e32 v10, vcc, s40, v16
	v_addc_co_u32_e32 v17, vcc, v18, v17, vcc
	v_subrev_co_u32_e32 v16, vcc, s2, v10
	v_subb_co_u32_e32 v17, vcc, v17, v19, vcc
	global_load_dwordx4 v[16:19], v[16:17], off
	s_waitcnt vmcnt(0)
	v_mul_f64 v[20:21], v[18:19], -v[7:8]
	v_mul_f64 v[18:19], v[5:6], v[18:19]
	v_fma_f64 v[5:6], v[5:6], v[16:17], v[20:21]
	v_fma_f64 v[7:8], v[7:8], v[16:17], v[18:19]
.LBB26_3:
	s_or_b64 exec, exec, s[0:1]
	v_lshlrev_b32_e32 v10, 2, v0
	v_or_b32_e32 v17, 0x1000, v10
	v_lshlrev_b32_e32 v18, 4, v0
	v_cmp_eq_u32_e64 s[0:1], 0, v0
	v_cmp_ne_u32_e64 s[2:3], 0, v0
	v_add_u32_e32 v19, -4, v17
	ds_write_b32 v10, v9 offset:4096
	ds_write_b128 v18, v[5:8]
	s_waitcnt lgkmcnt(0)
	s_barrier
	s_and_saveexec_b64 s[8:9], s[2:3]
	s_cbranch_execz .LBB26_7
; %bb.4:
	ds_read_b32 v10, v19
	s_waitcnt lgkmcnt(0)
	v_cmp_eq_u32_e32 vcc, v9, v10
	s_and_saveexec_b64 s[10:11], vcc
	s_cbranch_execz .LBB26_6
; %bb.5:
	v_add_u32_e32 v10, -16, v18
	ds_read_b128 v[20:23], v10
	s_waitcnt lgkmcnt(0)
	v_add_f64 v[5:6], v[5:6], v[20:21]
	v_add_f64 v[7:8], v[7:8], v[22:23]
.LBB26_6:
	s_or_b64 exec, exec, s[10:11]
.LBB26_7:
	s_or_b64 exec, exec, s[8:9]
	v_cmp_lt_u32_e64 s[22:23], 1, v0
	v_add_u32_e32 v20, -8, v17
	s_barrier
	ds_write_b128 v18, v[5:8]
	s_waitcnt lgkmcnt(0)
	s_barrier
	s_and_saveexec_b64 s[8:9], s[22:23]
	s_cbranch_execz .LBB26_11
; %bb.8:
	ds_read_b32 v10, v20
	s_waitcnt lgkmcnt(0)
	v_cmp_eq_u32_e32 vcc, v9, v10
	s_and_saveexec_b64 s[10:11], vcc
	s_cbranch_execz .LBB26_10
; %bb.9:
	v_subrev_u32_e32 v10, 32, v18
	ds_read_b128 v[21:24], v10
	s_waitcnt lgkmcnt(0)
	v_add_f64 v[5:6], v[5:6], v[21:22]
	v_add_f64 v[7:8], v[7:8], v[23:24]
.LBB26_10:
	s_or_b64 exec, exec, s[10:11]
.LBB26_11:
	s_or_b64 exec, exec, s[8:9]
	v_cmp_lt_u32_e64 s[8:9], 3, v0
	v_add_u32_e32 v21, -16, v17
	s_barrier
	ds_write_b128 v18, v[5:8]
	s_waitcnt lgkmcnt(0)
	s_barrier
	s_and_saveexec_b64 s[10:11], s[8:9]
	s_cbranch_execz .LBB26_15
; %bb.12:
	ds_read_b32 v10, v21
	s_waitcnt lgkmcnt(0)
	v_cmp_eq_u32_e32 vcc, v9, v10
	s_and_saveexec_b64 s[12:13], vcc
	s_cbranch_execz .LBB26_14
; %bb.13:
	v_subrev_u32_e32 v10, 64, v18
	ds_read_b128 v[22:25], v10
	s_waitcnt lgkmcnt(0)
	v_add_f64 v[5:6], v[5:6], v[22:23]
	v_add_f64 v[7:8], v[7:8], v[24:25]
.LBB26_14:
	s_or_b64 exec, exec, s[12:13]
.LBB26_15:
	s_or_b64 exec, exec, s[10:11]
	v_cmp_lt_u32_e64 s[10:11], 7, v0
	v_subrev_u32_e32 v22, 32, v17
	s_barrier
	ds_write_b128 v18, v[5:8]
	s_waitcnt lgkmcnt(0)
	s_barrier
	s_and_saveexec_b64 s[12:13], s[10:11]
	s_cbranch_execz .LBB26_19
; %bb.16:
	ds_read_b32 v10, v22
	s_waitcnt lgkmcnt(0)
	v_cmp_eq_u32_e32 vcc, v9, v10
	s_and_saveexec_b64 s[14:15], vcc
	s_cbranch_execz .LBB26_18
; %bb.17:
	v_add_u32_e32 v10, 0xffffff80, v18
	ds_read_b128 v[23:26], v10
	s_waitcnt lgkmcnt(0)
	v_add_f64 v[5:6], v[5:6], v[23:24]
	v_add_f64 v[7:8], v[7:8], v[25:26]
.LBB26_18:
	s_or_b64 exec, exec, s[14:15]
.LBB26_19:
	s_or_b64 exec, exec, s[12:13]
	v_cmp_lt_u32_e64 s[12:13], 15, v0
	v_subrev_u32_e32 v23, 64, v17
	s_barrier
	ds_write_b128 v18, v[5:8]
	s_waitcnt lgkmcnt(0)
	s_barrier
	s_and_saveexec_b64 s[14:15], s[12:13]
	s_cbranch_execz .LBB26_23
; %bb.20:
	ds_read_b32 v10, v23
	s_waitcnt lgkmcnt(0)
	v_cmp_eq_u32_e32 vcc, v9, v10
	s_and_saveexec_b64 s[16:17], vcc
	s_cbranch_execz .LBB26_22
; %bb.21:
	v_add_u32_e32 v10, 0xffffff00, v18
	ds_read_b128 v[24:27], v10
	s_waitcnt lgkmcnt(0)
	v_add_f64 v[5:6], v[5:6], v[24:25]
	v_add_f64 v[7:8], v[7:8], v[26:27]
.LBB26_22:
	s_or_b64 exec, exec, s[16:17]
.LBB26_23:
	s_or_b64 exec, exec, s[14:15]
	v_cmp_lt_u32_e64 s[14:15], 31, v0
	s_barrier
	ds_write_b128 v18, v[5:8]
	s_waitcnt lgkmcnt(0)
	s_barrier
	s_and_saveexec_b64 s[16:17], s[14:15]
	s_cbranch_execz .LBB26_27
; %bb.24:
	v_add_u32_e32 v10, 0xffffff80, v17
	ds_read_b32 v10, v10
	s_waitcnt lgkmcnt(0)
	v_cmp_eq_u32_e32 vcc, v9, v10
	s_and_saveexec_b64 s[18:19], vcc
	s_cbranch_execz .LBB26_26
; %bb.25:
	v_add_u32_e32 v10, 0xfffffe00, v18
	ds_read_b128 v[24:27], v10
	s_waitcnt lgkmcnt(0)
	v_add_f64 v[5:6], v[5:6], v[24:25]
	v_add_f64 v[7:8], v[7:8], v[26:27]
.LBB26_26:
	s_or_b64 exec, exec, s[18:19]
.LBB26_27:
	s_or_b64 exec, exec, s[16:17]
	v_cmp_lt_u32_e64 s[16:17], 63, v0
	s_barrier
	ds_write_b128 v18, v[5:8]
	s_waitcnt lgkmcnt(0)
	s_barrier
	s_and_saveexec_b64 s[18:19], s[16:17]
	s_cbranch_execz .LBB26_31
; %bb.28:
	v_add_u32_e32 v10, 0xffffff00, v17
	ds_read_b32 v10, v10
	s_waitcnt lgkmcnt(0)
	v_cmp_eq_u32_e32 vcc, v9, v10
	s_and_saveexec_b64 s[20:21], vcc
	s_cbranch_execz .LBB26_30
; %bb.29:
	v_add_u32_e32 v10, 0xfffffc00, v18
	ds_read_b128 v[24:27], v10
	s_waitcnt lgkmcnt(0)
	v_add_f64 v[5:6], v[5:6], v[24:25]
	v_add_f64 v[7:8], v[7:8], v[26:27]
.LBB26_30:
	s_or_b64 exec, exec, s[20:21]
.LBB26_31:
	s_or_b64 exec, exec, s[18:19]
	s_load_dwordx2 s[38:39], s[4:5], 0x38
	s_movk_i32 s7, 0x7f
	v_cmp_lt_u32_e64 s[18:19], s7, v0
	s_waitcnt lgkmcnt(0)
	s_barrier
	ds_write_b128 v18, v[5:8]
	s_waitcnt lgkmcnt(0)
	s_barrier
	s_and_saveexec_b64 s[20:21], s[18:19]
	s_cbranch_execz .LBB26_35
; %bb.32:
	v_add_u32_e32 v10, 0xfffffe00, v17
	ds_read_b32 v10, v10
	s_waitcnt lgkmcnt(0)
	v_cmp_eq_u32_e32 vcc, v9, v10
	s_and_saveexec_b64 s[24:25], vcc
	s_cbranch_execz .LBB26_34
; %bb.33:
	v_add_u32_e32 v10, 0xfffff800, v18
	ds_read_b128 v[24:27], v10
	s_waitcnt lgkmcnt(0)
	v_add_f64 v[5:6], v[5:6], v[24:25]
	v_add_f64 v[7:8], v[7:8], v[26:27]
.LBB26_34:
	s_or_b64 exec, exec, s[24:25]
.LBB26_35:
	s_or_b64 exec, exec, s[20:21]
	s_movk_i32 s7, 0xff
	v_cmp_gt_u32_e64 s[20:21], s7, v0
	s_barrier
	ds_write_b128 v18, v[5:8]
	s_waitcnt lgkmcnt(0)
	s_barrier
	s_and_saveexec_b64 s[26:27], s[20:21]
	s_cbranch_execz .LBB26_38
; %bb.36:
	ds_read_b32 v10, v17 offset:4
	v_cmp_lt_i32_e64 s[24:25], -1, v9
	s_waitcnt lgkmcnt(0)
	v_cmp_ne_u32_e32 vcc, v9, v10
	s_and_b64 s[24:25], s[24:25], vcc
	s_and_b64 exec, exec, s[24:25]
	s_cbranch_execz .LBB26_38
; %bb.37:
	v_mov_b32_e32 v10, 0
	v_lshlrev_b64 v[24:25], 4, v[9:10]
	v_mov_b32_e32 v10, s39
	v_add_co_u32_e32 v28, vcc, s38, v24
	v_addc_co_u32_e32 v29, vcc, v10, v25, vcc
	global_load_dwordx4 v[24:27], v[28:29], off
	s_waitcnt vmcnt(0)
	v_fma_f64 v[24:25], v[1:2], v[5:6], v[24:25]
	v_fma_f64 v[26:27], v[3:4], v[5:6], v[26:27]
	v_fma_f64 v[24:25], -v[3:4], v[7:8], v[24:25]
	v_fma_f64 v[26:27], v[1:2], v[7:8], v[26:27]
	global_store_dwordx4 v[28:29], v[24:27], off
.LBB26_38:
	s_or_b64 exec, exec, s[26:27]
	s_load_dwordx4 s[24:27], s[4:5], 0x40
	s_cmp_lt_i32 s42, 2
	s_cbranch_scc1 .LBB26_85
; %bb.39:
	s_ashr_i32 s35, s34, 31
	s_lshl_b64 s[4:5], s[34:35], 4
	v_mov_b32_e32 v5, s29
	v_add_co_u32_e32 v6, vcc, s28, v11
	s_sub_u32 s7, s40, s4
	v_addc_co_u32_e32 v5, vcc, v5, v12, vcc
	s_movk_i32 s4, 0x800
	v_add_co_u32_e32 v11, vcc, s4, v6
	v_addc_co_u32_e32 v12, vcc, 0, v5, vcc
	v_mov_b32_e32 v5, s31
	v_add_co_u32_e32 v6, vcc, s30, v13
	v_addc_co_u32_e32 v5, vcc, v5, v14, vcc
	s_movk_i32 s4, 0x1008
	v_add_co_u32_e32 v13, vcc, s4, v6
	v_addc_co_u32_e32 v14, vcc, 0, v5, vcc
	s_movk_i32 s4, 0x100
	v_add_co_u32_e32 v15, vcc, s4, v15
	s_subb_u32 s33, s41, s5
	v_add_u32_e32 v24, 0xffffff80, v17
	v_add_u32_e32 v25, 0xfffffe00, v18
	v_add_u32_e32 v26, 0xffffff00, v17
	v_add_u32_e32 v27, 0xfffffc00, v18
	v_add_u32_e32 v28, 0xfffffe00, v17
	v_add_u32_e32 v29, 0xfffff800, v18
	v_addc_co_u32_e64 v16, s[4:5], 0, 0, vcc
	s_add_i32 s35, s42, -1
	v_mov_b32_e32 v10, 0
	s_mov_b32 s29, 0
	s_branch .LBB26_41
.LBB26_40:                              ;   in Loop: Header=BB26_41 Depth=1
	s_or_b64 exec, exec, s[30:31]
	v_add_co_u32_e32 v11, vcc, 0x800, v11
	v_addc_co_u32_e32 v12, vcc, 0, v12, vcc
	v_add_co_u32_e32 v13, vcc, 0x1000, v13
	v_addc_co_u32_e32 v14, vcc, 0, v14, vcc
	v_add_co_u32_e32 v15, vcc, 0x100, v15
	s_add_i32 s35, s35, -1
	s_cmp_eq_u32 s35, 0
	v_addc_co_u32_e32 v16, vcc, 0, v16, vcc
	s_cbranch_scc1 .LBB26_85
.LBB26_41:                              ; =>This Inner Loop Header: Depth=1
	v_cmp_gt_i64_e32 vcc, s[36:37], v[15:16]
	v_mov_b32_e32 v5, 0
	v_mov_b32_e32 v7, 0
	;; [unrolled: 1-line block ×4, first 2 shown]
	v_mov_b32_e32 v9, -1
	s_and_saveexec_b64 s[4:5], vcc
	s_cbranch_execz .LBB26_43
; %bb.42:                               ;   in Loop: Header=BB26_41 Depth=1
	global_load_dwordx2 v[34:35], v[11:12], off glc slc
	global_load_dwordx4 v[5:8], v[13:14], off offset:-8 glc slc
	v_mov_b32_e32 v9, s33
	s_waitcnt vmcnt(1)
	v_ashrrev_i32_e32 v31, 31, v35
	v_mov_b32_e32 v30, v35
	v_lshlrev_b64 v[30:31], 4, v[30:31]
	v_add_co_u32_e32 v30, vcc, s7, v30
	v_addc_co_u32_e32 v31, vcc, v9, v31, vcc
	global_load_dwordx4 v[30:33], v[30:31], off
	v_subrev_u32_e32 v9, s34, v34
	s_waitcnt vmcnt(0)
	v_mul_f64 v[35:36], v[32:33], -v[7:8]
	v_mul_f64 v[32:33], v[5:6], v[32:33]
	v_fma_f64 v[5:6], v[5:6], v[30:31], v[35:36]
	v_fma_f64 v[7:8], v[7:8], v[30:31], v[32:33]
.LBB26_43:                              ;   in Loop: Header=BB26_41 Depth=1
	s_or_b64 exec, exec, s[4:5]
	s_and_saveexec_b64 s[4:5], s[0:1]
	s_cbranch_execz .LBB26_50
; %bb.44:                               ;   in Loop: Header=BB26_41 Depth=1
	ds_read_b32 v30, v10 offset:5116
	s_waitcnt lgkmcnt(0)
	v_readfirstlane_b32 s28, v30
	v_cmp_ne_u32_e32 vcc, v9, v30
	s_and_saveexec_b64 s[30:31], vcc
	s_xor_b64 s[30:31], exec, s[30:31]
	s_cbranch_execz .LBB26_47
; %bb.45:                               ;   in Loop: Header=BB26_41 Depth=1
	s_cmp_lt_i32 s28, 0
	s_cbranch_scc1 .LBB26_47
; %bb.46:                               ;   in Loop: Header=BB26_41 Depth=1
	s_lshl_b64 s[40:41], s[28:29], 4
	s_add_u32 s40, s38, s40
	s_addc_u32 s41, s39, s41
	global_load_dwordx4 v[30:33], v10, s[40:41]
	ds_read_b128 v[34:37], v10 offset:4080
	s_waitcnt vmcnt(0) lgkmcnt(0)
	v_fma_f64 v[30:31], v[1:2], v[34:35], v[30:31]
	v_fma_f64 v[32:33], v[3:4], v[34:35], v[32:33]
	v_fma_f64 v[30:31], -v[3:4], v[36:37], v[30:31]
	v_fma_f64 v[32:33], v[1:2], v[36:37], v[32:33]
	global_store_dwordx4 v10, v[30:33], s[40:41]
.LBB26_47:                              ;   in Loop: Header=BB26_41 Depth=1
	s_andn2_saveexec_b64 s[30:31], s[30:31]
	s_cbranch_execz .LBB26_49
; %bb.48:                               ;   in Loop: Header=BB26_41 Depth=1
	ds_read_b128 v[30:33], v10 offset:4080
	s_waitcnt lgkmcnt(0)
	v_add_f64 v[5:6], v[5:6], v[30:31]
	v_add_f64 v[7:8], v[7:8], v[32:33]
.LBB26_49:                              ;   in Loop: Header=BB26_41 Depth=1
	s_or_b64 exec, exec, s[30:31]
.LBB26_50:                              ;   in Loop: Header=BB26_41 Depth=1
	s_or_b64 exec, exec, s[4:5]
	s_waitcnt vmcnt(0) lgkmcnt(0)
	s_barrier
	ds_write_b32 v17, v9
	ds_write_b128 v18, v[5:8]
	s_waitcnt lgkmcnt(0)
	s_barrier
	s_and_saveexec_b64 s[4:5], s[2:3]
	s_cbranch_execz .LBB26_54
; %bb.51:                               ;   in Loop: Header=BB26_41 Depth=1
	ds_read_b32 v30, v19
	s_waitcnt lgkmcnt(0)
	v_cmp_eq_u32_e32 vcc, v9, v30
	s_and_saveexec_b64 s[30:31], vcc
	s_cbranch_execz .LBB26_53
; %bb.52:                               ;   in Loop: Header=BB26_41 Depth=1
	v_add_u32_e32 v30, -16, v18
	ds_read_b128 v[30:33], v30
	s_waitcnt lgkmcnt(0)
	v_add_f64 v[5:6], v[5:6], v[30:31]
	v_add_f64 v[7:8], v[7:8], v[32:33]
.LBB26_53:                              ;   in Loop: Header=BB26_41 Depth=1
	s_or_b64 exec, exec, s[30:31]
.LBB26_54:                              ;   in Loop: Header=BB26_41 Depth=1
	s_or_b64 exec, exec, s[4:5]
	s_barrier
	ds_write_b128 v18, v[5:8]
	s_waitcnt lgkmcnt(0)
	s_barrier
	s_and_saveexec_b64 s[4:5], s[22:23]
	s_cbranch_execz .LBB26_58
; %bb.55:                               ;   in Loop: Header=BB26_41 Depth=1
	ds_read_b32 v30, v20
	s_waitcnt lgkmcnt(0)
	v_cmp_eq_u32_e32 vcc, v9, v30
	s_and_saveexec_b64 s[30:31], vcc
	s_cbranch_execz .LBB26_57
; %bb.56:                               ;   in Loop: Header=BB26_41 Depth=1
	v_subrev_u32_e32 v30, 32, v18
	ds_read_b128 v[30:33], v30
	s_waitcnt lgkmcnt(0)
	v_add_f64 v[5:6], v[5:6], v[30:31]
	v_add_f64 v[7:8], v[7:8], v[32:33]
.LBB26_57:                              ;   in Loop: Header=BB26_41 Depth=1
	s_or_b64 exec, exec, s[30:31]
.LBB26_58:                              ;   in Loop: Header=BB26_41 Depth=1
	s_or_b64 exec, exec, s[4:5]
	s_barrier
	ds_write_b128 v18, v[5:8]
	s_waitcnt lgkmcnt(0)
	s_barrier
	s_and_saveexec_b64 s[4:5], s[8:9]
	s_cbranch_execz .LBB26_62
; %bb.59:                               ;   in Loop: Header=BB26_41 Depth=1
	ds_read_b32 v30, v21
	s_waitcnt lgkmcnt(0)
	v_cmp_eq_u32_e32 vcc, v9, v30
	s_and_saveexec_b64 s[30:31], vcc
	s_cbranch_execz .LBB26_61
; %bb.60:                               ;   in Loop: Header=BB26_41 Depth=1
	v_subrev_u32_e32 v30, 64, v18
	ds_read_b128 v[30:33], v30
	s_waitcnt lgkmcnt(0)
	v_add_f64 v[5:6], v[5:6], v[30:31]
	v_add_f64 v[7:8], v[7:8], v[32:33]
.LBB26_61:                              ;   in Loop: Header=BB26_41 Depth=1
	s_or_b64 exec, exec, s[30:31]
.LBB26_62:                              ;   in Loop: Header=BB26_41 Depth=1
	s_or_b64 exec, exec, s[4:5]
	s_barrier
	ds_write_b128 v18, v[5:8]
	s_waitcnt lgkmcnt(0)
	s_barrier
	s_and_saveexec_b64 s[4:5], s[10:11]
	s_cbranch_execz .LBB26_66
; %bb.63:                               ;   in Loop: Header=BB26_41 Depth=1
	ds_read_b32 v30, v22
	s_waitcnt lgkmcnt(0)
	v_cmp_eq_u32_e32 vcc, v9, v30
	s_and_saveexec_b64 s[30:31], vcc
	s_cbranch_execz .LBB26_65
; %bb.64:                               ;   in Loop: Header=BB26_41 Depth=1
	v_add_u32_e32 v30, 0xffffff80, v18
	ds_read_b128 v[30:33], v30
	s_waitcnt lgkmcnt(0)
	v_add_f64 v[5:6], v[5:6], v[30:31]
	v_add_f64 v[7:8], v[7:8], v[32:33]
.LBB26_65:                              ;   in Loop: Header=BB26_41 Depth=1
	s_or_b64 exec, exec, s[30:31]
.LBB26_66:                              ;   in Loop: Header=BB26_41 Depth=1
	s_or_b64 exec, exec, s[4:5]
	s_barrier
	ds_write_b128 v18, v[5:8]
	s_waitcnt lgkmcnt(0)
	s_barrier
	s_and_saveexec_b64 s[4:5], s[12:13]
	s_cbranch_execz .LBB26_70
; %bb.67:                               ;   in Loop: Header=BB26_41 Depth=1
	ds_read_b32 v30, v23
	s_waitcnt lgkmcnt(0)
	v_cmp_eq_u32_e32 vcc, v9, v30
	s_and_saveexec_b64 s[30:31], vcc
	s_cbranch_execz .LBB26_69
; %bb.68:                               ;   in Loop: Header=BB26_41 Depth=1
	v_add_u32_e32 v30, 0xffffff00, v18
	ds_read_b128 v[30:33], v30
	s_waitcnt lgkmcnt(0)
	v_add_f64 v[5:6], v[5:6], v[30:31]
	v_add_f64 v[7:8], v[7:8], v[32:33]
.LBB26_69:                              ;   in Loop: Header=BB26_41 Depth=1
	s_or_b64 exec, exec, s[30:31]
.LBB26_70:                              ;   in Loop: Header=BB26_41 Depth=1
	s_or_b64 exec, exec, s[4:5]
	s_barrier
	ds_write_b128 v18, v[5:8]
	s_waitcnt lgkmcnt(0)
	s_barrier
	s_and_saveexec_b64 s[4:5], s[14:15]
	s_cbranch_execz .LBB26_74
; %bb.71:                               ;   in Loop: Header=BB26_41 Depth=1
	ds_read_b32 v30, v24
	s_waitcnt lgkmcnt(0)
	v_cmp_eq_u32_e32 vcc, v9, v30
	s_and_saveexec_b64 s[30:31], vcc
	s_cbranch_execz .LBB26_73
; %bb.72:                               ;   in Loop: Header=BB26_41 Depth=1
	ds_read_b128 v[30:33], v25
	s_waitcnt lgkmcnt(0)
	v_add_f64 v[5:6], v[5:6], v[30:31]
	v_add_f64 v[7:8], v[7:8], v[32:33]
.LBB26_73:                              ;   in Loop: Header=BB26_41 Depth=1
	s_or_b64 exec, exec, s[30:31]
.LBB26_74:                              ;   in Loop: Header=BB26_41 Depth=1
	s_or_b64 exec, exec, s[4:5]
	s_barrier
	ds_write_b128 v18, v[5:8]
	s_waitcnt lgkmcnt(0)
	s_barrier
	s_and_saveexec_b64 s[4:5], s[16:17]
	s_cbranch_execz .LBB26_78
; %bb.75:                               ;   in Loop: Header=BB26_41 Depth=1
	ds_read_b32 v30, v26
	s_waitcnt lgkmcnt(0)
	v_cmp_eq_u32_e32 vcc, v9, v30
	s_and_saveexec_b64 s[30:31], vcc
	s_cbranch_execz .LBB26_77
; %bb.76:                               ;   in Loop: Header=BB26_41 Depth=1
	ds_read_b128 v[30:33], v27
	s_waitcnt lgkmcnt(0)
	v_add_f64 v[5:6], v[5:6], v[30:31]
	v_add_f64 v[7:8], v[7:8], v[32:33]
.LBB26_77:                              ;   in Loop: Header=BB26_41 Depth=1
	s_or_b64 exec, exec, s[30:31]
.LBB26_78:                              ;   in Loop: Header=BB26_41 Depth=1
	;; [unrolled: 21-line block ×3, first 2 shown]
	s_or_b64 exec, exec, s[4:5]
	s_barrier
	ds_write_b128 v18, v[5:8]
	s_waitcnt lgkmcnt(0)
	s_barrier
	s_and_saveexec_b64 s[30:31], s[20:21]
	s_cbranch_execz .LBB26_40
; %bb.83:                               ;   in Loop: Header=BB26_41 Depth=1
	ds_read_b32 v30, v17 offset:4
	v_cmp_lt_i32_e64 s[4:5], -1, v9
	s_waitcnt lgkmcnt(0)
	v_cmp_ne_u32_e32 vcc, v9, v30
	s_and_b64 s[4:5], s[4:5], vcc
	s_and_b64 exec, exec, s[4:5]
	s_cbranch_execz .LBB26_40
; %bb.84:                               ;   in Loop: Header=BB26_41 Depth=1
	v_lshlrev_b64 v[30:31], 4, v[9:10]
	v_mov_b32_e32 v32, s39
	v_add_co_u32_e32 v34, vcc, s38, v30
	v_addc_co_u32_e32 v35, vcc, v32, v31, vcc
	global_load_dwordx4 v[30:33], v[34:35], off
	s_waitcnt vmcnt(0)
	v_fma_f64 v[30:31], v[1:2], v[5:6], v[30:31]
	v_fma_f64 v[32:33], v[3:4], v[5:6], v[32:33]
	v_fma_f64 v[30:31], -v[3:4], v[7:8], v[30:31]
	v_fma_f64 v[32:33], v[1:2], v[7:8], v[32:33]
	global_store_dwordx4 v[34:35], v[30:33], off
	s_branch .LBB26_40
.LBB26_85:
	s_movk_i32 s0, 0xff
	v_cmp_eq_u32_e32 vcc, s0, v0
	s_and_b64 exec, exec, vcc
	s_cbranch_execz .LBB26_87
; %bb.86:
	v_mul_f64 v[10:11], v[7:8], -v[3:4]
	v_mul_f64 v[7:8], v[1:2], v[7:8]
	s_mov_b32 s7, 0
	s_lshl_b64 s[0:1], s[6:7], 2
	s_waitcnt lgkmcnt(0)
	s_add_u32 s0, s24, s0
	s_addc_u32 s1, s25, s1
	v_fma_f64 v[0:1], v[1:2], v[5:6], v[10:11]
	v_fma_f64 v[2:3], v[3:4], v[5:6], v[7:8]
	v_mov_b32_e32 v4, 0
	global_store_dword v4, v9, s[0:1] glc slc
	s_lshl_b64 s[0:1], s[6:7], 4
	s_add_u32 s0, s26, s0
	s_addc_u32 s1, s27, s1
	global_store_dwordx4 v4, v[0:3], s[0:1] glc slc
.LBB26_87:
	s_endpgm
	.section	.rodata,"a",@progbits
	.p2align	6, 0x0
	.amdhsa_kernel _ZN9rocsparseL26coomvn_aos_segmented_loopsILj256Ei21rocsparse_complex_numIdES2_S2_S2_EEvlT0_NS_24const_host_device_scalarIT4_EEPKS3_PKT1_PKT2_PT3_PS3_PS5_21rocsparse_index_base_b
		.amdhsa_group_segment_fixed_size 5120
		.amdhsa_private_segment_fixed_size 0
		.amdhsa_kernarg_size 88
		.amdhsa_user_sgpr_count 6
		.amdhsa_user_sgpr_private_segment_buffer 1
		.amdhsa_user_sgpr_dispatch_ptr 0
		.amdhsa_user_sgpr_queue_ptr 0
		.amdhsa_user_sgpr_kernarg_segment_ptr 1
		.amdhsa_user_sgpr_dispatch_id 0
		.amdhsa_user_sgpr_flat_scratch_init 0
		.amdhsa_user_sgpr_private_segment_size 0
		.amdhsa_uses_dynamic_stack 0
		.amdhsa_system_sgpr_private_segment_wavefront_offset 0
		.amdhsa_system_sgpr_workgroup_id_x 1
		.amdhsa_system_sgpr_workgroup_id_y 0
		.amdhsa_system_sgpr_workgroup_id_z 0
		.amdhsa_system_sgpr_workgroup_info 0
		.amdhsa_system_vgpr_workitem_id 0
		.amdhsa_next_free_vgpr 38
		.amdhsa_next_free_sgpr 43
		.amdhsa_reserve_vcc 1
		.amdhsa_reserve_flat_scratch 0
		.amdhsa_float_round_mode_32 0
		.amdhsa_float_round_mode_16_64 0
		.amdhsa_float_denorm_mode_32 3
		.amdhsa_float_denorm_mode_16_64 3
		.amdhsa_dx10_clamp 1
		.amdhsa_ieee_mode 1
		.amdhsa_fp16_overflow 0
		.amdhsa_exception_fp_ieee_invalid_op 0
		.amdhsa_exception_fp_denorm_src 0
		.amdhsa_exception_fp_ieee_div_zero 0
		.amdhsa_exception_fp_ieee_overflow 0
		.amdhsa_exception_fp_ieee_underflow 0
		.amdhsa_exception_fp_ieee_inexact 0
		.amdhsa_exception_int_div_zero 0
	.end_amdhsa_kernel
	.section	.text._ZN9rocsparseL26coomvn_aos_segmented_loopsILj256Ei21rocsparse_complex_numIdES2_S2_S2_EEvlT0_NS_24const_host_device_scalarIT4_EEPKS3_PKT1_PKT2_PT3_PS3_PS5_21rocsparse_index_base_b,"axG",@progbits,_ZN9rocsparseL26coomvn_aos_segmented_loopsILj256Ei21rocsparse_complex_numIdES2_S2_S2_EEvlT0_NS_24const_host_device_scalarIT4_EEPKS3_PKT1_PKT2_PT3_PS3_PS5_21rocsparse_index_base_b,comdat
.Lfunc_end26:
	.size	_ZN9rocsparseL26coomvn_aos_segmented_loopsILj256Ei21rocsparse_complex_numIdES2_S2_S2_EEvlT0_NS_24const_host_device_scalarIT4_EEPKS3_PKT1_PKT2_PT3_PS3_PS5_21rocsparse_index_base_b, .Lfunc_end26-_ZN9rocsparseL26coomvn_aos_segmented_loopsILj256Ei21rocsparse_complex_numIdES2_S2_S2_EEvlT0_NS_24const_host_device_scalarIT4_EEPKS3_PKT1_PKT2_PT3_PS3_PS5_21rocsparse_index_base_b
                                        ; -- End function
	.set _ZN9rocsparseL26coomvn_aos_segmented_loopsILj256Ei21rocsparse_complex_numIdES2_S2_S2_EEvlT0_NS_24const_host_device_scalarIT4_EEPKS3_PKT1_PKT2_PT3_PS3_PS5_21rocsparse_index_base_b.num_vgpr, 38
	.set _ZN9rocsparseL26coomvn_aos_segmented_loopsILj256Ei21rocsparse_complex_numIdES2_S2_S2_EEvlT0_NS_24const_host_device_scalarIT4_EEPKS3_PKT1_PKT2_PT3_PS3_PS5_21rocsparse_index_base_b.num_agpr, 0
	.set _ZN9rocsparseL26coomvn_aos_segmented_loopsILj256Ei21rocsparse_complex_numIdES2_S2_S2_EEvlT0_NS_24const_host_device_scalarIT4_EEPKS3_PKT1_PKT2_PT3_PS3_PS5_21rocsparse_index_base_b.numbered_sgpr, 43
	.set _ZN9rocsparseL26coomvn_aos_segmented_loopsILj256Ei21rocsparse_complex_numIdES2_S2_S2_EEvlT0_NS_24const_host_device_scalarIT4_EEPKS3_PKT1_PKT2_PT3_PS3_PS5_21rocsparse_index_base_b.num_named_barrier, 0
	.set _ZN9rocsparseL26coomvn_aos_segmented_loopsILj256Ei21rocsparse_complex_numIdES2_S2_S2_EEvlT0_NS_24const_host_device_scalarIT4_EEPKS3_PKT1_PKT2_PT3_PS3_PS5_21rocsparse_index_base_b.private_seg_size, 0
	.set _ZN9rocsparseL26coomvn_aos_segmented_loopsILj256Ei21rocsparse_complex_numIdES2_S2_S2_EEvlT0_NS_24const_host_device_scalarIT4_EEPKS3_PKT1_PKT2_PT3_PS3_PS5_21rocsparse_index_base_b.uses_vcc, 1
	.set _ZN9rocsparseL26coomvn_aos_segmented_loopsILj256Ei21rocsparse_complex_numIdES2_S2_S2_EEvlT0_NS_24const_host_device_scalarIT4_EEPKS3_PKT1_PKT2_PT3_PS3_PS5_21rocsparse_index_base_b.uses_flat_scratch, 0
	.set _ZN9rocsparseL26coomvn_aos_segmented_loopsILj256Ei21rocsparse_complex_numIdES2_S2_S2_EEvlT0_NS_24const_host_device_scalarIT4_EEPKS3_PKT1_PKT2_PT3_PS3_PS5_21rocsparse_index_base_b.has_dyn_sized_stack, 0
	.set _ZN9rocsparseL26coomvn_aos_segmented_loopsILj256Ei21rocsparse_complex_numIdES2_S2_S2_EEvlT0_NS_24const_host_device_scalarIT4_EEPKS3_PKT1_PKT2_PT3_PS3_PS5_21rocsparse_index_base_b.has_recursion, 0
	.set _ZN9rocsparseL26coomvn_aos_segmented_loopsILj256Ei21rocsparse_complex_numIdES2_S2_S2_EEvlT0_NS_24const_host_device_scalarIT4_EEPKS3_PKT1_PKT2_PT3_PS3_PS5_21rocsparse_index_base_b.has_indirect_call, 0
	.section	.AMDGPU.csdata,"",@progbits
; Kernel info:
; codeLenInByte = 2888
; TotalNumSgprs: 47
; NumVgprs: 38
; ScratchSize: 0
; MemoryBound: 1
; FloatMode: 240
; IeeeMode: 1
; LDSByteSize: 5120 bytes/workgroup (compile time only)
; SGPRBlocks: 5
; VGPRBlocks: 9
; NumSGPRsForWavesPerEU: 47
; NumVGPRsForWavesPerEU: 38
; Occupancy: 6
; WaveLimiterHint : 1
; COMPUTE_PGM_RSRC2:SCRATCH_EN: 0
; COMPUTE_PGM_RSRC2:USER_SGPR: 6
; COMPUTE_PGM_RSRC2:TRAP_HANDLER: 0
; COMPUTE_PGM_RSRC2:TGID_X_EN: 1
; COMPUTE_PGM_RSRC2:TGID_Y_EN: 0
; COMPUTE_PGM_RSRC2:TGID_Z_EN: 0
; COMPUTE_PGM_RSRC2:TIDIG_COMP_CNT: 0
	.section	.text._ZN9rocsparseL29coomvn_segmented_loops_reduceILj256Ei21rocsparse_complex_numIdES2_EEvT0_NS_24const_host_device_scalarIT2_EEPKS3_PKS5_PT1_b,"axG",@progbits,_ZN9rocsparseL29coomvn_segmented_loops_reduceILj256Ei21rocsparse_complex_numIdES2_EEvT0_NS_24const_host_device_scalarIT2_EEPKS3_PKS5_PT1_b,comdat
	.globl	_ZN9rocsparseL29coomvn_segmented_loops_reduceILj256Ei21rocsparse_complex_numIdES2_EEvT0_NS_24const_host_device_scalarIT2_EEPKS3_PKS5_PT1_b ; -- Begin function _ZN9rocsparseL29coomvn_segmented_loops_reduceILj256Ei21rocsparse_complex_numIdES2_EEvT0_NS_24const_host_device_scalarIT2_EEPKS3_PKS5_PT1_b
	.p2align	8
	.type	_ZN9rocsparseL29coomvn_segmented_loops_reduceILj256Ei21rocsparse_complex_numIdES2_EEvT0_NS_24const_host_device_scalarIT2_EEPKS3_PKS5_PT1_b,@function
_ZN9rocsparseL29coomvn_segmented_loops_reduceILj256Ei21rocsparse_complex_numIdES2_EEvT0_NS_24const_host_device_scalarIT2_EEPKS3_PKS5_PT1_b: ; @_ZN9rocsparseL29coomvn_segmented_loops_reduceILj256Ei21rocsparse_complex_numIdES2_EEvT0_NS_24const_host_device_scalarIT2_EEPKS3_PKS5_PT1_b
; %bb.0:
	s_load_dword s2, s[4:5], 0x30
	s_load_dwordx2 s[0:1], s[4:5], 0x8
	s_add_u32 s3, s4, 8
	s_addc_u32 s6, s5, 0
	s_waitcnt lgkmcnt(0)
	s_bitcmp1_b32 s2, 0
	s_cselect_b32 s1, s6, s1
	s_cselect_b32 s0, s3, s0
	v_mov_b32_e32 v1, s0
	v_mov_b32_e32 v2, s1
	flat_load_dwordx4 v[1:4], v[1:2]
	s_waitcnt vmcnt(0) lgkmcnt(0)
	v_cmp_neq_f64_e32 vcc, 0, v[1:2]
	v_cmp_neq_f64_e64 s[0:1], 0, v[3:4]
	s_or_b64 s[0:1], vcc, s[0:1]
	s_and_saveexec_b64 s[2:3], s[0:1]
	s_cbranch_execz .LBB27_42
; %bb.1:
	s_load_dword s28, s[4:5], 0x0
	s_waitcnt lgkmcnt(0)
	s_cmp_lt_i32 s28, 1
	s_cbranch_scc1 .LBB27_42
; %bb.2:
	v_mov_b32_e32 v1, 0x1000
	v_subrev_co_u32_e32 v2, vcc, 1, v0
	s_load_dwordx4 s[8:11], s[4:5], 0x18
	s_load_dwordx2 s[6:7], s[4:5], 0x28
	s_xor_b64 s[4:5], vcc, -1
	v_lshl_add_u32 v12, v2, 2, v1
	v_subrev_co_u32_e32 v2, vcc, 2, v0
	s_xor_b64 s[12:13], vcc, -1
	v_lshl_add_u32 v13, v2, 2, v1
	v_subrev_co_u32_e32 v2, vcc, 4, v0
	;; [unrolled: 3-line block ×6, first 2 shown]
	s_movk_i32 s0, 0x80
	v_lshlrev_b32_e32 v11, 4, v0
	s_xor_b64 s[22:23], vcc, -1
	v_lshl_add_u32 v20, v2, 2, v1
	v_subrev_co_u32_e32 v2, vcc, s0, v0
	s_movk_i32 s0, 0xff
	v_lshl_or_b32 v10, v0, 2, v1
	v_add_u32_e32 v17, 0xffffff00, v11
	v_add_u32_e32 v19, 0xfffffe00, v11
	;; [unrolled: 1-line block ×3, first 2 shown]
	s_xor_b64 s[24:25], vcc, -1
	v_lshl_add_u32 v22, v2, 2, v1
	v_add_u32_e32 v23, 0xfffff800, v11
	v_cmp_gt_u32_e32 vcc, s0, v0
	s_mov_b32 s29, 0
	v_mov_b32_e32 v9, 0
	s_branch .LBB27_4
.LBB27_3:                               ;   in Loop: Header=BB27_4 Depth=1
	s_or_b64 exec, exec, s[2:3]
	s_addk_i32 s29, 0x100
	s_cmp_lt_i32 s29, s28
	s_waitcnt vmcnt(0)
	s_barrier
	s_cbranch_scc0 .LBB27_42
.LBB27_4:                               ; =>This Inner Loop Header: Depth=1
	v_add_u32_e32 v1, s29, v0
	v_mov_b32_e32 v3, 0
	v_mov_b32_e32 v7, 0
	;; [unrolled: 1-line block ×3, first 2 shown]
	v_cmp_gt_i32_e64 s[0:1], s28, v1
	v_mov_b32_e32 v4, 0
	v_mov_b32_e32 v8, 0
	;; [unrolled: 1-line block ×3, first 2 shown]
	v_mov_b32_e32 v2, -1
	s_and_saveexec_b64 s[2:3], s[0:1]
	s_cbranch_execz .LBB27_6
; %bb.5:                                ;   in Loop: Header=BB27_4 Depth=1
	v_ashrrev_i32_e32 v2, 31, v1
	v_lshlrev_b64 v[5:6], 4, v[1:2]
	s_waitcnt lgkmcnt(0)
	v_mov_b32_e32 v7, s11
	v_add_co_u32_e64 v24, s[0:1], s10, v5
	v_lshlrev_b64 v[1:2], 2, v[1:2]
	v_addc_co_u32_e64 v25, s[0:1], v7, v6, s[0:1]
	v_mov_b32_e32 v5, s9
	v_add_co_u32_e64 v26, s[0:1], s8, v1
	v_addc_co_u32_e64 v27, s[0:1], v5, v2, s[0:1]
	global_load_dword v2, v[26:27], off
	global_load_dwordx4 v[5:8], v[24:25], off
.LBB27_6:                               ;   in Loop: Header=BB27_4 Depth=1
	s_or_b64 exec, exec, s[2:3]
	s_waitcnt vmcnt(1)
	ds_write_b32 v10, v2
	s_waitcnt vmcnt(0)
	ds_write_b128 v11, v[5:8]
	v_mov_b32_e32 v1, 0
	v_mov_b32_e32 v2, 0
	s_waitcnt lgkmcnt(0)
	s_barrier
	s_and_saveexec_b64 s[2:3], s[4:5]
	s_cbranch_execz .LBB27_10
; %bb.7:                                ;   in Loop: Header=BB27_4 Depth=1
	ds_read2_b32 v[5:6], v12 offset1:1
	v_mov_b32_e32 v1, 0
	v_mov_b32_e32 v3, 0
	;; [unrolled: 1-line block ×4, first 2 shown]
	s_waitcnt lgkmcnt(0)
	v_cmp_eq_u32_e64 s[0:1], v6, v5
	s_and_saveexec_b64 s[26:27], s[0:1]
; %bb.8:                                ;   in Loop: Header=BB27_4 Depth=1
	v_add_u32_e32 v1, -16, v11
	ds_read_b128 v[1:4], v1
; %bb.9:                                ;   in Loop: Header=BB27_4 Depth=1
	s_or_b64 exec, exec, s[26:27]
.LBB27_10:                              ;   in Loop: Header=BB27_4 Depth=1
	s_or_b64 exec, exec, s[2:3]
	s_waitcnt lgkmcnt(0)
	s_barrier
	ds_read_b128 v[5:8], v11
	s_waitcnt lgkmcnt(0)
	v_add_f64 v[24:25], v[1:2], v[5:6]
	v_add_f64 v[26:27], v[3:4], v[7:8]
	v_mov_b32_e32 v3, 0
	v_mov_b32_e32 v7, 0
	;; [unrolled: 1-line block ×6, first 2 shown]
	ds_write_b128 v11, v[24:27]
	s_waitcnt lgkmcnt(0)
	s_barrier
	s_and_saveexec_b64 s[2:3], s[12:13]
	s_cbranch_execz .LBB27_14
; %bb.11:                               ;   in Loop: Header=BB27_4 Depth=1
	ds_read_b32 v1, v10
	ds_read_b32 v2, v13
	v_mov_b32_e32 v5, 0
	v_mov_b32_e32 v7, 0
	;; [unrolled: 1-line block ×4, first 2 shown]
	s_waitcnt lgkmcnt(0)
	v_cmp_eq_u32_e64 s[0:1], v1, v2
	s_and_saveexec_b64 s[26:27], s[0:1]
; %bb.12:                               ;   in Loop: Header=BB27_4 Depth=1
	v_subrev_u32_e32 v1, 32, v11
	ds_read_b128 v[5:8], v1
; %bb.13:                               ;   in Loop: Header=BB27_4 Depth=1
	s_or_b64 exec, exec, s[26:27]
.LBB27_14:                              ;   in Loop: Header=BB27_4 Depth=1
	s_or_b64 exec, exec, s[2:3]
	s_waitcnt lgkmcnt(0)
	s_barrier
	ds_read_b128 v[24:27], v11
	v_mov_b32_e32 v1, 0
	v_mov_b32_e32 v2, 0
	s_waitcnt lgkmcnt(0)
	v_add_f64 v[5:6], v[5:6], v[24:25]
	v_add_f64 v[7:8], v[7:8], v[26:27]
	ds_write_b128 v11, v[5:8]
	s_waitcnt lgkmcnt(0)
	s_barrier
	s_and_saveexec_b64 s[2:3], s[14:15]
	s_cbranch_execz .LBB27_18
; %bb.15:                               ;   in Loop: Header=BB27_4 Depth=1
	ds_read_b32 v5, v10
	ds_read_b32 v6, v14
	v_mov_b32_e32 v1, 0
	v_mov_b32_e32 v3, 0
	;; [unrolled: 1-line block ×4, first 2 shown]
	s_waitcnt lgkmcnt(0)
	v_cmp_eq_u32_e64 s[0:1], v5, v6
	s_and_saveexec_b64 s[26:27], s[0:1]
; %bb.16:                               ;   in Loop: Header=BB27_4 Depth=1
	v_subrev_u32_e32 v1, 64, v11
	ds_read_b128 v[1:4], v1
; %bb.17:                               ;   in Loop: Header=BB27_4 Depth=1
	s_or_b64 exec, exec, s[26:27]
.LBB27_18:                              ;   in Loop: Header=BB27_4 Depth=1
	s_or_b64 exec, exec, s[2:3]
	s_waitcnt lgkmcnt(0)
	s_barrier
	ds_read_b128 v[5:8], v11
	s_waitcnt lgkmcnt(0)
	v_add_f64 v[24:25], v[1:2], v[5:6]
	v_add_f64 v[26:27], v[3:4], v[7:8]
	v_mov_b32_e32 v3, 0
	v_mov_b32_e32 v7, 0
	v_mov_b32_e32 v5, 0
	v_mov_b32_e32 v4, 0
	v_mov_b32_e32 v8, 0
	v_mov_b32_e32 v6, 0
	ds_write_b128 v11, v[24:27]
	s_waitcnt lgkmcnt(0)
	s_barrier
	s_and_saveexec_b64 s[2:3], s[16:17]
	s_cbranch_execz .LBB27_22
; %bb.19:                               ;   in Loop: Header=BB27_4 Depth=1
	ds_read_b32 v1, v10
	ds_read_b32 v2, v15
	v_mov_b32_e32 v5, 0
	v_mov_b32_e32 v7, 0
	;; [unrolled: 1-line block ×4, first 2 shown]
	s_waitcnt lgkmcnt(0)
	v_cmp_eq_u32_e64 s[0:1], v1, v2
	s_and_saveexec_b64 s[26:27], s[0:1]
; %bb.20:                               ;   in Loop: Header=BB27_4 Depth=1
	v_add_u32_e32 v1, 0xffffff80, v11
	ds_read_b128 v[5:8], v1
; %bb.21:                               ;   in Loop: Header=BB27_4 Depth=1
	s_or_b64 exec, exec, s[26:27]
.LBB27_22:                              ;   in Loop: Header=BB27_4 Depth=1
	s_or_b64 exec, exec, s[2:3]
	s_waitcnt lgkmcnt(0)
	s_barrier
	ds_read_b128 v[24:27], v11
	v_mov_b32_e32 v1, 0
	v_mov_b32_e32 v2, 0
	s_waitcnt lgkmcnt(0)
	v_add_f64 v[5:6], v[5:6], v[24:25]
	v_add_f64 v[7:8], v[7:8], v[26:27]
	ds_write_b128 v11, v[5:8]
	s_waitcnt lgkmcnt(0)
	s_barrier
	s_and_saveexec_b64 s[2:3], s[18:19]
	s_cbranch_execz .LBB27_26
; %bb.23:                               ;   in Loop: Header=BB27_4 Depth=1
	ds_read_b32 v5, v10
	ds_read_b32 v6, v16
	v_mov_b32_e32 v1, 0
	v_mov_b32_e32 v3, 0
	;; [unrolled: 1-line block ×4, first 2 shown]
	s_waitcnt lgkmcnt(0)
	v_cmp_eq_u32_e64 s[0:1], v5, v6
	s_and_saveexec_b64 s[26:27], s[0:1]
; %bb.24:                               ;   in Loop: Header=BB27_4 Depth=1
	ds_read_b128 v[1:4], v17
; %bb.25:                               ;   in Loop: Header=BB27_4 Depth=1
	s_or_b64 exec, exec, s[26:27]
.LBB27_26:                              ;   in Loop: Header=BB27_4 Depth=1
	s_or_b64 exec, exec, s[2:3]
	s_waitcnt lgkmcnt(0)
	s_barrier
	ds_read_b128 v[5:8], v11
	s_waitcnt lgkmcnt(0)
	v_add_f64 v[24:25], v[1:2], v[5:6]
	v_add_f64 v[26:27], v[3:4], v[7:8]
	v_mov_b32_e32 v3, 0
	v_mov_b32_e32 v7, 0
	;; [unrolled: 1-line block ×6, first 2 shown]
	ds_write_b128 v11, v[24:27]
	s_waitcnt lgkmcnt(0)
	s_barrier
	s_and_saveexec_b64 s[2:3], s[20:21]
	s_cbranch_execz .LBB27_30
; %bb.27:                               ;   in Loop: Header=BB27_4 Depth=1
	ds_read_b32 v1, v10
	ds_read_b32 v2, v18
	v_mov_b32_e32 v5, 0
	v_mov_b32_e32 v7, 0
	;; [unrolled: 1-line block ×4, first 2 shown]
	s_waitcnt lgkmcnt(0)
	v_cmp_eq_u32_e64 s[0:1], v1, v2
	s_and_saveexec_b64 s[26:27], s[0:1]
; %bb.28:                               ;   in Loop: Header=BB27_4 Depth=1
	ds_read_b128 v[5:8], v19
; %bb.29:                               ;   in Loop: Header=BB27_4 Depth=1
	s_or_b64 exec, exec, s[26:27]
.LBB27_30:                              ;   in Loop: Header=BB27_4 Depth=1
	s_or_b64 exec, exec, s[2:3]
	s_waitcnt lgkmcnt(0)
	s_barrier
	ds_read_b128 v[24:27], v11
	v_mov_b32_e32 v1, 0
	v_mov_b32_e32 v2, 0
	s_waitcnt lgkmcnt(0)
	v_add_f64 v[5:6], v[5:6], v[24:25]
	v_add_f64 v[7:8], v[7:8], v[26:27]
	ds_write_b128 v11, v[5:8]
	s_waitcnt lgkmcnt(0)
	s_barrier
	s_and_saveexec_b64 s[2:3], s[22:23]
	s_cbranch_execz .LBB27_34
; %bb.31:                               ;   in Loop: Header=BB27_4 Depth=1
	ds_read_b32 v5, v10
	ds_read_b32 v6, v20
	v_mov_b32_e32 v1, 0
	v_mov_b32_e32 v3, 0
	;; [unrolled: 1-line block ×4, first 2 shown]
	s_waitcnt lgkmcnt(0)
	v_cmp_eq_u32_e64 s[0:1], v5, v6
	s_and_saveexec_b64 s[26:27], s[0:1]
; %bb.32:                               ;   in Loop: Header=BB27_4 Depth=1
	ds_read_b128 v[1:4], v21
; %bb.33:                               ;   in Loop: Header=BB27_4 Depth=1
	s_or_b64 exec, exec, s[26:27]
.LBB27_34:                              ;   in Loop: Header=BB27_4 Depth=1
	s_or_b64 exec, exec, s[2:3]
	s_waitcnt lgkmcnt(0)
	s_barrier
	ds_read_b128 v[5:8], v11
	s_waitcnt lgkmcnt(0)
	v_add_f64 v[5:6], v[1:2], v[5:6]
	v_add_f64 v[7:8], v[3:4], v[7:8]
	v_mov_b32_e32 v3, 0
	v_mov_b32_e32 v1, 0
	;; [unrolled: 1-line block ×4, first 2 shown]
	ds_write_b128 v11, v[5:8]
	s_waitcnt lgkmcnt(0)
	s_barrier
	s_and_saveexec_b64 s[2:3], s[24:25]
	s_cbranch_execz .LBB27_38
; %bb.35:                               ;   in Loop: Header=BB27_4 Depth=1
	ds_read_b32 v5, v10
	ds_read_b32 v6, v22
	v_mov_b32_e32 v1, 0
	v_mov_b32_e32 v3, 0
	;; [unrolled: 1-line block ×4, first 2 shown]
	s_waitcnt lgkmcnt(0)
	v_cmp_eq_u32_e64 s[0:1], v5, v6
	s_and_saveexec_b64 s[26:27], s[0:1]
; %bb.36:                               ;   in Loop: Header=BB27_4 Depth=1
	ds_read_b128 v[1:4], v23
; %bb.37:                               ;   in Loop: Header=BB27_4 Depth=1
	s_or_b64 exec, exec, s[26:27]
.LBB27_38:                              ;   in Loop: Header=BB27_4 Depth=1
	s_or_b64 exec, exec, s[2:3]
	s_waitcnt lgkmcnt(0)
	s_barrier
	ds_read_b128 v[5:8], v11
	s_waitcnt lgkmcnt(0)
	v_add_f64 v[1:2], v[1:2], v[5:6]
	v_add_f64 v[3:4], v[3:4], v[7:8]
	ds_write_b128 v11, v[1:4]
	s_waitcnt lgkmcnt(0)
	s_barrier
	ds_read_b32 v8, v10
	v_mov_b32_e32 v1, -1
	s_and_saveexec_b64 s[0:1], vcc
; %bb.39:                               ;   in Loop: Header=BB27_4 Depth=1
	ds_read_b32 v1, v10 offset:4
; %bb.40:                               ;   in Loop: Header=BB27_4 Depth=1
	s_or_b64 exec, exec, s[0:1]
	s_waitcnt lgkmcnt(0)
	v_cmp_ne_u32_e64 s[0:1], v8, v1
	v_cmp_lt_i32_e64 s[2:3], -1, v8
	s_and_b64 s[0:1], s[2:3], s[0:1]
	s_and_saveexec_b64 s[2:3], s[0:1]
	s_cbranch_execz .LBB27_3
; %bb.41:                               ;   in Loop: Header=BB27_4 Depth=1
	v_lshlrev_b64 v[1:2], 4, v[8:9]
	v_mov_b32_e32 v3, s7
	v_add_co_u32_e64 v24, s[0:1], s6, v1
	v_addc_co_u32_e64 v25, s[0:1], v3, v2, s[0:1]
	global_load_dwordx4 v[1:4], v[24:25], off
	ds_read_b128 v[5:8], v11
	s_waitcnt vmcnt(0) lgkmcnt(0)
	v_add_f64 v[1:2], v[5:6], v[1:2]
	v_add_f64 v[3:4], v[7:8], v[3:4]
	global_store_dwordx4 v[24:25], v[1:4], off
	s_branch .LBB27_3
.LBB27_42:
	s_endpgm
	.section	.rodata,"a",@progbits
	.p2align	6, 0x0
	.amdhsa_kernel _ZN9rocsparseL29coomvn_segmented_loops_reduceILj256Ei21rocsparse_complex_numIdES2_EEvT0_NS_24const_host_device_scalarIT2_EEPKS3_PKS5_PT1_b
		.amdhsa_group_segment_fixed_size 5120
		.amdhsa_private_segment_fixed_size 0
		.amdhsa_kernarg_size 52
		.amdhsa_user_sgpr_count 6
		.amdhsa_user_sgpr_private_segment_buffer 1
		.amdhsa_user_sgpr_dispatch_ptr 0
		.amdhsa_user_sgpr_queue_ptr 0
		.amdhsa_user_sgpr_kernarg_segment_ptr 1
		.amdhsa_user_sgpr_dispatch_id 0
		.amdhsa_user_sgpr_flat_scratch_init 0
		.amdhsa_user_sgpr_private_segment_size 0
		.amdhsa_uses_dynamic_stack 0
		.amdhsa_system_sgpr_private_segment_wavefront_offset 0
		.amdhsa_system_sgpr_workgroup_id_x 1
		.amdhsa_system_sgpr_workgroup_id_y 0
		.amdhsa_system_sgpr_workgroup_id_z 0
		.amdhsa_system_sgpr_workgroup_info 0
		.amdhsa_system_vgpr_workitem_id 0
		.amdhsa_next_free_vgpr 28
		.amdhsa_next_free_sgpr 30
		.amdhsa_reserve_vcc 1
		.amdhsa_reserve_flat_scratch 0
		.amdhsa_float_round_mode_32 0
		.amdhsa_float_round_mode_16_64 0
		.amdhsa_float_denorm_mode_32 3
		.amdhsa_float_denorm_mode_16_64 3
		.amdhsa_dx10_clamp 1
		.amdhsa_ieee_mode 1
		.amdhsa_fp16_overflow 0
		.amdhsa_exception_fp_ieee_invalid_op 0
		.amdhsa_exception_fp_denorm_src 0
		.amdhsa_exception_fp_ieee_div_zero 0
		.amdhsa_exception_fp_ieee_overflow 0
		.amdhsa_exception_fp_ieee_underflow 0
		.amdhsa_exception_fp_ieee_inexact 0
		.amdhsa_exception_int_div_zero 0
	.end_amdhsa_kernel
	.section	.text._ZN9rocsparseL29coomvn_segmented_loops_reduceILj256Ei21rocsparse_complex_numIdES2_EEvT0_NS_24const_host_device_scalarIT2_EEPKS3_PKS5_PT1_b,"axG",@progbits,_ZN9rocsparseL29coomvn_segmented_loops_reduceILj256Ei21rocsparse_complex_numIdES2_EEvT0_NS_24const_host_device_scalarIT2_EEPKS3_PKS5_PT1_b,comdat
.Lfunc_end27:
	.size	_ZN9rocsparseL29coomvn_segmented_loops_reduceILj256Ei21rocsparse_complex_numIdES2_EEvT0_NS_24const_host_device_scalarIT2_EEPKS3_PKS5_PT1_b, .Lfunc_end27-_ZN9rocsparseL29coomvn_segmented_loops_reduceILj256Ei21rocsparse_complex_numIdES2_EEvT0_NS_24const_host_device_scalarIT2_EEPKS3_PKS5_PT1_b
                                        ; -- End function
	.set _ZN9rocsparseL29coomvn_segmented_loops_reduceILj256Ei21rocsparse_complex_numIdES2_EEvT0_NS_24const_host_device_scalarIT2_EEPKS3_PKS5_PT1_b.num_vgpr, 28
	.set _ZN9rocsparseL29coomvn_segmented_loops_reduceILj256Ei21rocsparse_complex_numIdES2_EEvT0_NS_24const_host_device_scalarIT2_EEPKS3_PKS5_PT1_b.num_agpr, 0
	.set _ZN9rocsparseL29coomvn_segmented_loops_reduceILj256Ei21rocsparse_complex_numIdES2_EEvT0_NS_24const_host_device_scalarIT2_EEPKS3_PKS5_PT1_b.numbered_sgpr, 30
	.set _ZN9rocsparseL29coomvn_segmented_loops_reduceILj256Ei21rocsparse_complex_numIdES2_EEvT0_NS_24const_host_device_scalarIT2_EEPKS3_PKS5_PT1_b.num_named_barrier, 0
	.set _ZN9rocsparseL29coomvn_segmented_loops_reduceILj256Ei21rocsparse_complex_numIdES2_EEvT0_NS_24const_host_device_scalarIT2_EEPKS3_PKS5_PT1_b.private_seg_size, 0
	.set _ZN9rocsparseL29coomvn_segmented_loops_reduceILj256Ei21rocsparse_complex_numIdES2_EEvT0_NS_24const_host_device_scalarIT2_EEPKS3_PKS5_PT1_b.uses_vcc, 1
	.set _ZN9rocsparseL29coomvn_segmented_loops_reduceILj256Ei21rocsparse_complex_numIdES2_EEvT0_NS_24const_host_device_scalarIT2_EEPKS3_PKS5_PT1_b.uses_flat_scratch, 0
	.set _ZN9rocsparseL29coomvn_segmented_loops_reduceILj256Ei21rocsparse_complex_numIdES2_EEvT0_NS_24const_host_device_scalarIT2_EEPKS3_PKS5_PT1_b.has_dyn_sized_stack, 0
	.set _ZN9rocsparseL29coomvn_segmented_loops_reduceILj256Ei21rocsparse_complex_numIdES2_EEvT0_NS_24const_host_device_scalarIT2_EEPKS3_PKS5_PT1_b.has_recursion, 0
	.set _ZN9rocsparseL29coomvn_segmented_loops_reduceILj256Ei21rocsparse_complex_numIdES2_EEvT0_NS_24const_host_device_scalarIT2_EEPKS3_PKS5_PT1_b.has_indirect_call, 0
	.section	.AMDGPU.csdata,"",@progbits
; Kernel info:
; codeLenInByte = 1776
; TotalNumSgprs: 34
; NumVgprs: 28
; ScratchSize: 0
; MemoryBound: 0
; FloatMode: 240
; IeeeMode: 1
; LDSByteSize: 5120 bytes/workgroup (compile time only)
; SGPRBlocks: 4
; VGPRBlocks: 6
; NumSGPRsForWavesPerEU: 34
; NumVGPRsForWavesPerEU: 28
; Occupancy: 9
; WaveLimiterHint : 0
; COMPUTE_PGM_RSRC2:SCRATCH_EN: 0
; COMPUTE_PGM_RSRC2:USER_SGPR: 6
; COMPUTE_PGM_RSRC2:TRAP_HANDLER: 0
; COMPUTE_PGM_RSRC2:TGID_X_EN: 1
; COMPUTE_PGM_RSRC2:TGID_Y_EN: 0
; COMPUTE_PGM_RSRC2:TGID_Z_EN: 0
; COMPUTE_PGM_RSRC2:TIDIG_COMP_CNT: 0
	.section	.text._ZN9rocsparseL23coomvn_aos_atomic_loopsILj256ELj1El21rocsparse_complex_numIdES2_S2_S2_EEvlNS_24const_host_device_scalarIT5_EEPKT1_PKT2_PKT3_PT4_21rocsparse_index_base_b,"axG",@progbits,_ZN9rocsparseL23coomvn_aos_atomic_loopsILj256ELj1El21rocsparse_complex_numIdES2_S2_S2_EEvlNS_24const_host_device_scalarIT5_EEPKT1_PKT2_PKT3_PT4_21rocsparse_index_base_b,comdat
	.globl	_ZN9rocsparseL23coomvn_aos_atomic_loopsILj256ELj1El21rocsparse_complex_numIdES2_S2_S2_EEvlNS_24const_host_device_scalarIT5_EEPKT1_PKT2_PKT3_PT4_21rocsparse_index_base_b ; -- Begin function _ZN9rocsparseL23coomvn_aos_atomic_loopsILj256ELj1El21rocsparse_complex_numIdES2_S2_S2_EEvlNS_24const_host_device_scalarIT5_EEPKT1_PKT2_PKT3_PT4_21rocsparse_index_base_b
	.p2align	8
	.type	_ZN9rocsparseL23coomvn_aos_atomic_loopsILj256ELj1El21rocsparse_complex_numIdES2_S2_S2_EEvlNS_24const_host_device_scalarIT5_EEPKT1_PKT2_PKT3_PT4_21rocsparse_index_base_b,@function
_ZN9rocsparseL23coomvn_aos_atomic_loopsILj256ELj1El21rocsparse_complex_numIdES2_S2_S2_EEvlNS_24const_host_device_scalarIT5_EEPKT1_PKT2_PKT3_PT4_21rocsparse_index_base_b: ; @_ZN9rocsparseL23coomvn_aos_atomic_loopsILj256ELj1El21rocsparse_complex_numIdES2_S2_S2_EEvlNS_24const_host_device_scalarIT5_EEPKT1_PKT2_PKT3_PT4_21rocsparse_index_base_b
; %bb.0:
	s_load_dwordx2 s[2:3], s[4:5], 0x38
	s_load_dwordx4 s[8:11], s[4:5], 0x0
	s_or_b32 s0, s4, 8
	s_waitcnt lgkmcnt(0)
	s_bitcmp1_b32 s3, 0
	s_cselect_b32 s1, s5, s11
	s_cselect_b32 s0, s0, s10
	v_mov_b32_e32 v1, s0
	v_mov_b32_e32 v2, s1
	flat_load_dwordx4 v[1:4], v[1:2]
	s_waitcnt vmcnt(0) lgkmcnt(0)
	v_cmp_neq_f64_e32 vcc, 0, v[1:2]
	v_cmp_neq_f64_e64 s[0:1], 0, v[3:4]
	s_or_b64 s[0:1], vcc, s[0:1]
	s_and_saveexec_b64 s[10:11], s[0:1]
	s_cbranch_execz .LBB28_46
; %bb.1:
	v_mov_b32_e32 v5, 0
	v_lshl_or_b32 v9, s6, 8, v0
	v_mov_b32_e32 v10, 0
	v_mov_b32_e32 v6, 0
	v_cmp_gt_i64_e32 vcc, s[8:9], v[9:10]
	v_mov_b32_e32 v13, -1
	v_mov_b32_e32 v8, v6
	v_mov_b32_e32 v14, -1
	v_mov_b32_e32 v7, v5
	s_and_saveexec_b64 s[0:1], vcc
	s_cbranch_execz .LBB28_3
; %bb.2:
	s_load_dwordx4 s[8:11], s[4:5], 0x18
	s_load_dwordx2 s[6:7], s[4:5], 0x28
	v_lshlrev_b64 v[5:6], 4, v[9:10]
	s_waitcnt lgkmcnt(0)
	v_mov_b32_e32 v8, s9
	v_add_co_u32_e32 v7, vcc, s8, v5
	v_addc_co_u32_e32 v8, vcc, v8, v6, vcc
	global_load_dwordx4 v[9:12], v[7:8], off glc slc
	v_mov_b32_e32 v7, s11
	v_add_co_u32_e32 v5, vcc, s10, v5
	v_addc_co_u32_e32 v6, vcc, v7, v6, vcc
	v_mov_b32_e32 v13, s7
	global_load_dwordx4 v[5:8], v[5:6], off glc slc
	s_waitcnt vmcnt(1)
	v_subrev_co_u32_e32 v11, vcc, s2, v11
	v_subbrev_co_u32_e32 v12, vcc, 0, v12, vcc
	v_lshlrev_b64 v[11:12], 4, v[11:12]
	v_add_co_u32_e32 v11, vcc, s6, v11
	v_addc_co_u32_e32 v12, vcc, v13, v12, vcc
	global_load_dwordx4 v[11:14], v[11:12], off
	s_waitcnt vmcnt(0)
	v_mul_f64 v[15:16], v[13:14], -v[7:8]
	v_mul_f64 v[13:14], v[5:6], v[13:14]
	v_fma_f64 v[5:6], v[5:6], v[11:12], v[15:16]
	v_fma_f64 v[7:8], v[7:8], v[11:12], v[13:14]
	v_subrev_co_u32_e32 v13, vcc, s2, v9
	v_subbrev_co_u32_e32 v14, vcc, 0, v10, vcc
.LBB28_3:
	s_or_b64 exec, exec, s[0:1]
	v_lshlrev_b32_e32 v10, 3, v0
	v_or_b32_e32 v9, 0x1000, v10
	ds_write_b64 v10, v[13:14] offset:4096
	v_lshlrev_b32_e32 v10, 4, v0
	v_cmp_ne_u32_e32 vcc, 0, v0
	ds_write_b128 v10, v[5:8]
	s_waitcnt lgkmcnt(0)
	s_barrier
	s_and_saveexec_b64 s[0:1], vcc
	s_cbranch_execz .LBB28_7
; %bb.4:
	v_add_u32_e32 v11, -8, v9
	ds_read_b64 v[11:12], v11
	s_waitcnt lgkmcnt(0)
	v_cmp_eq_u64_e32 vcc, v[13:14], v[11:12]
	s_and_saveexec_b64 s[2:3], vcc
	s_cbranch_execz .LBB28_6
; %bb.5:
	v_add_u32_e32 v11, -16, v10
	ds_read_b128 v[15:18], v11
	s_waitcnt lgkmcnt(0)
	v_add_f64 v[5:6], v[5:6], v[15:16]
	v_add_f64 v[7:8], v[7:8], v[17:18]
.LBB28_6:
	s_or_b64 exec, exec, s[2:3]
.LBB28_7:
	s_or_b64 exec, exec, s[0:1]
	v_cmp_lt_u32_e32 vcc, 1, v0
	s_barrier
	ds_write_b128 v10, v[5:8]
	s_waitcnt lgkmcnt(0)
	s_barrier
	s_and_saveexec_b64 s[0:1], vcc
	s_cbranch_execz .LBB28_11
; %bb.8:
	v_add_u32_e32 v11, -16, v9
	ds_read_b64 v[11:12], v11
	s_waitcnt lgkmcnt(0)
	v_cmp_eq_u64_e32 vcc, v[13:14], v[11:12]
	s_and_saveexec_b64 s[2:3], vcc
	s_cbranch_execz .LBB28_10
; %bb.9:
	v_subrev_u32_e32 v11, 32, v10
	ds_read_b128 v[15:18], v11
	s_waitcnt lgkmcnt(0)
	v_add_f64 v[5:6], v[5:6], v[15:16]
	v_add_f64 v[7:8], v[7:8], v[17:18]
.LBB28_10:
	s_or_b64 exec, exec, s[2:3]
.LBB28_11:
	s_or_b64 exec, exec, s[0:1]
	v_cmp_lt_u32_e32 vcc, 3, v0
	s_barrier
	ds_write_b128 v10, v[5:8]
	s_waitcnt lgkmcnt(0)
	s_barrier
	s_and_saveexec_b64 s[0:1], vcc
	s_cbranch_execz .LBB28_15
; %bb.12:
	v_subrev_u32_e32 v11, 32, v9
	ds_read_b64 v[11:12], v11
	s_waitcnt lgkmcnt(0)
	v_cmp_eq_u64_e32 vcc, v[13:14], v[11:12]
	s_and_saveexec_b64 s[2:3], vcc
	s_cbranch_execz .LBB28_14
; %bb.13:
	v_subrev_u32_e32 v11, 64, v10
	ds_read_b128 v[15:18], v11
	s_waitcnt lgkmcnt(0)
	v_add_f64 v[5:6], v[5:6], v[15:16]
	v_add_f64 v[7:8], v[7:8], v[17:18]
.LBB28_14:
	s_or_b64 exec, exec, s[2:3]
.LBB28_15:
	s_or_b64 exec, exec, s[0:1]
	v_cmp_lt_u32_e32 vcc, 7, v0
	s_barrier
	ds_write_b128 v10, v[5:8]
	s_waitcnt lgkmcnt(0)
	s_barrier
	s_and_saveexec_b64 s[0:1], vcc
	s_cbranch_execz .LBB28_19
; %bb.16:
	v_subrev_u32_e32 v11, 64, v9
	ds_read_b64 v[11:12], v11
	s_waitcnt lgkmcnt(0)
	v_cmp_eq_u64_e32 vcc, v[13:14], v[11:12]
	s_and_saveexec_b64 s[2:3], vcc
	s_cbranch_execz .LBB28_18
; %bb.17:
	v_add_u32_e32 v11, 0xffffff80, v10
	ds_read_b128 v[15:18], v11
	s_waitcnt lgkmcnt(0)
	v_add_f64 v[5:6], v[5:6], v[15:16]
	v_add_f64 v[7:8], v[7:8], v[17:18]
.LBB28_18:
	s_or_b64 exec, exec, s[2:3]
.LBB28_19:
	s_or_b64 exec, exec, s[0:1]
	v_cmp_lt_u32_e32 vcc, 15, v0
	s_barrier
	ds_write_b128 v10, v[5:8]
	s_waitcnt lgkmcnt(0)
	s_barrier
	s_and_saveexec_b64 s[0:1], vcc
	s_cbranch_execz .LBB28_23
; %bb.20:
	v_add_u32_e32 v11, 0xffffff80, v9
	ds_read_b64 v[11:12], v11
	s_waitcnt lgkmcnt(0)
	v_cmp_eq_u64_e32 vcc, v[13:14], v[11:12]
	s_and_saveexec_b64 s[2:3], vcc
	s_cbranch_execz .LBB28_22
; %bb.21:
	v_add_u32_e32 v11, 0xffffff00, v10
	ds_read_b128 v[15:18], v11
	s_waitcnt lgkmcnt(0)
	v_add_f64 v[5:6], v[5:6], v[15:16]
	v_add_f64 v[7:8], v[7:8], v[17:18]
.LBB28_22:
	s_or_b64 exec, exec, s[2:3]
.LBB28_23:
	s_or_b64 exec, exec, s[0:1]
	v_cmp_lt_u32_e32 vcc, 31, v0
	s_barrier
	ds_write_b128 v10, v[5:8]
	s_waitcnt lgkmcnt(0)
	s_barrier
	s_and_saveexec_b64 s[0:1], vcc
	s_cbranch_execz .LBB28_27
; %bb.24:
	v_add_u32_e32 v11, 0xffffff00, v9
	ds_read_b64 v[11:12], v11
	s_waitcnt lgkmcnt(0)
	v_cmp_eq_u64_e32 vcc, v[13:14], v[11:12]
	s_and_saveexec_b64 s[2:3], vcc
	s_cbranch_execz .LBB28_26
; %bb.25:
	v_add_u32_e32 v11, 0xfffffe00, v10
	ds_read_b128 v[15:18], v11
	s_waitcnt lgkmcnt(0)
	v_add_f64 v[5:6], v[5:6], v[15:16]
	v_add_f64 v[7:8], v[7:8], v[17:18]
.LBB28_26:
	s_or_b64 exec, exec, s[2:3]
.LBB28_27:
	;; [unrolled: 24-line block ×3, first 2 shown]
	s_or_b64 exec, exec, s[0:1]
	s_load_dwordx2 s[2:3], s[4:5], 0x30
	s_movk_i32 s0, 0x7f
	v_cmp_lt_u32_e32 vcc, s0, v0
	s_waitcnt lgkmcnt(0)
	s_barrier
	ds_write_b128 v10, v[5:8]
	s_waitcnt lgkmcnt(0)
	s_barrier
	s_and_saveexec_b64 s[0:1], vcc
	s_cbranch_execz .LBB28_35
; %bb.32:
	v_add_u32_e32 v11, 0xfffffc00, v9
	ds_read_b64 v[11:12], v11
	s_waitcnt lgkmcnt(0)
	v_cmp_eq_u64_e32 vcc, v[13:14], v[11:12]
	s_and_saveexec_b64 s[4:5], vcc
	s_cbranch_execz .LBB28_34
; %bb.33:
	v_add_u32_e32 v11, 0xfffff800, v10
	ds_read_b128 v[15:18], v11
	s_waitcnt lgkmcnt(0)
	v_add_f64 v[5:6], v[5:6], v[15:16]
	v_add_f64 v[7:8], v[7:8], v[17:18]
.LBB28_34:
	s_or_b64 exec, exec, s[4:5]
.LBB28_35:
	s_or_b64 exec, exec, s[0:1]
	s_movk_i32 s6, 0xff
	v_cmp_gt_u32_e32 vcc, s6, v0
	s_barrier
	ds_write_b128 v10, v[5:8]
	s_waitcnt lgkmcnt(0)
	s_barrier
	s_and_saveexec_b64 s[4:5], vcc
	s_cbranch_execz .LBB28_41
; %bb.36:
	ds_read_b64 v[9:10], v9 offset:8
	v_cmp_lt_i64_e64 s[0:1], -1, v[13:14]
	s_waitcnt lgkmcnt(0)
	v_cmp_ne_u64_e32 vcc, v[13:14], v[9:10]
	s_and_b64 s[0:1], s[0:1], vcc
	s_and_b64 exec, exec, s[0:1]
	s_cbranch_execz .LBB28_41
; %bb.37:
	v_lshlrev_b64 v[9:10], 4, v[13:14]
	v_mov_b32_e32 v11, s3
	v_add_co_u32_e32 v15, vcc, s2, v9
	v_addc_co_u32_e32 v16, vcc, v11, v10, vcc
	global_load_dwordx2 v[11:12], v[15:16], off
	v_mul_f64 v[9:10], v[7:8], -v[3:4]
	s_mov_b64 s[0:1], 0
	v_fma_f64 v[17:18], v[1:2], v[5:6], v[9:10]
.LBB28_38:                              ; =>This Inner Loop Header: Depth=1
	s_waitcnt vmcnt(0)
	v_add_f64 v[9:10], v[11:12], v[17:18]
	global_atomic_cmpswap_x2 v[9:10], v[15:16], v[9:12], off glc
	s_waitcnt vmcnt(0)
	v_cmp_eq_u64_e32 vcc, v[9:10], v[11:12]
	v_mov_b32_e32 v12, v10
	s_or_b64 s[0:1], vcc, s[0:1]
	v_mov_b32_e32 v11, v9
	s_andn2_b64 exec, exec, s[0:1]
	s_cbranch_execnz .LBB28_38
; %bb.39:
	s_or_b64 exec, exec, s[0:1]
	global_load_dwordx2 v[11:12], v[15:16], off offset:8
	v_mul_f64 v[9:10], v[1:2], v[7:8]
	s_mov_b64 s[0:1], 0
	v_fma_f64 v[17:18], v[3:4], v[5:6], v[9:10]
.LBB28_40:                              ; =>This Inner Loop Header: Depth=1
	s_waitcnt vmcnt(0)
	v_add_f64 v[9:10], v[11:12], v[17:18]
	global_atomic_cmpswap_x2 v[9:10], v[15:16], v[9:12], off offset:8 glc
	s_waitcnt vmcnt(0)
	v_cmp_eq_u64_e32 vcc, v[9:10], v[11:12]
	v_mov_b32_e32 v12, v10
	s_or_b64 s[0:1], vcc, s[0:1]
	v_mov_b32_e32 v11, v9
	s_andn2_b64 exec, exec, s[0:1]
	s_cbranch_execnz .LBB28_40
.LBB28_41:
	s_or_b64 exec, exec, s[4:5]
	v_cmp_lt_i64_e32 vcc, -1, v[13:14]
	v_cmp_eq_u32_e64 s[0:1], s6, v0
	s_and_b64 s[0:1], s[0:1], vcc
	s_and_b64 exec, exec, s[0:1]
	s_cbranch_execz .LBB28_46
; %bb.42:
	v_lshlrev_b64 v[9:10], 4, v[13:14]
	v_mov_b32_e32 v0, s3
	v_add_co_u32_e32 v13, vcc, s2, v9
	v_addc_co_u32_e32 v14, vcc, v0, v10, vcc
	global_load_dwordx2 v[11:12], v[13:14], off
	v_mul_f64 v[9:10], v[7:8], -v[3:4]
	s_mov_b64 s[0:1], 0
	v_fma_f64 v[15:16], v[1:2], v[5:6], v[9:10]
.LBB28_43:                              ; =>This Inner Loop Header: Depth=1
	s_waitcnt vmcnt(0)
	v_add_f64 v[9:10], v[11:12], v[15:16]
	global_atomic_cmpswap_x2 v[9:10], v[13:14], v[9:12], off glc
	s_waitcnt vmcnt(0)
	v_cmp_eq_u64_e32 vcc, v[9:10], v[11:12]
	v_mov_b32_e32 v12, v10
	s_or_b64 s[0:1], vcc, s[0:1]
	v_mov_b32_e32 v11, v9
	s_andn2_b64 exec, exec, s[0:1]
	s_cbranch_execnz .LBB28_43
; %bb.44:
	s_or_b64 exec, exec, s[0:1]
	global_load_dwordx2 v[9:10], v[13:14], off offset:8
	v_mul_f64 v[0:1], v[1:2], v[7:8]
	s_mov_b64 s[0:1], 0
	v_fma_f64 v[0:1], v[3:4], v[5:6], v[0:1]
.LBB28_45:                              ; =>This Inner Loop Header: Depth=1
	s_waitcnt vmcnt(0)
	v_add_f64 v[7:8], v[9:10], v[0:1]
	global_atomic_cmpswap_x2 v[2:3], v[13:14], v[7:10], off offset:8 glc
	s_waitcnt vmcnt(0)
	v_cmp_eq_u64_e32 vcc, v[2:3], v[9:10]
	v_mov_b32_e32 v10, v3
	s_or_b64 s[0:1], vcc, s[0:1]
	v_mov_b32_e32 v9, v2
	s_andn2_b64 exec, exec, s[0:1]
	s_cbranch_execnz .LBB28_45
.LBB28_46:
	s_endpgm
	.section	.rodata,"a",@progbits
	.p2align	6, 0x0
	.amdhsa_kernel _ZN9rocsparseL23coomvn_aos_atomic_loopsILj256ELj1El21rocsparse_complex_numIdES2_S2_S2_EEvlNS_24const_host_device_scalarIT5_EEPKT1_PKT2_PKT3_PT4_21rocsparse_index_base_b
		.amdhsa_group_segment_fixed_size 6144
		.amdhsa_private_segment_fixed_size 0
		.amdhsa_kernarg_size 64
		.amdhsa_user_sgpr_count 6
		.amdhsa_user_sgpr_private_segment_buffer 1
		.amdhsa_user_sgpr_dispatch_ptr 0
		.amdhsa_user_sgpr_queue_ptr 0
		.amdhsa_user_sgpr_kernarg_segment_ptr 1
		.amdhsa_user_sgpr_dispatch_id 0
		.amdhsa_user_sgpr_flat_scratch_init 0
		.amdhsa_user_sgpr_private_segment_size 0
		.amdhsa_uses_dynamic_stack 0
		.amdhsa_system_sgpr_private_segment_wavefront_offset 0
		.amdhsa_system_sgpr_workgroup_id_x 1
		.amdhsa_system_sgpr_workgroup_id_y 0
		.amdhsa_system_sgpr_workgroup_id_z 0
		.amdhsa_system_sgpr_workgroup_info 0
		.amdhsa_system_vgpr_workitem_id 0
		.amdhsa_next_free_vgpr 19
		.amdhsa_next_free_sgpr 12
		.amdhsa_reserve_vcc 1
		.amdhsa_reserve_flat_scratch 0
		.amdhsa_float_round_mode_32 0
		.amdhsa_float_round_mode_16_64 0
		.amdhsa_float_denorm_mode_32 3
		.amdhsa_float_denorm_mode_16_64 3
		.amdhsa_dx10_clamp 1
		.amdhsa_ieee_mode 1
		.amdhsa_fp16_overflow 0
		.amdhsa_exception_fp_ieee_invalid_op 0
		.amdhsa_exception_fp_denorm_src 0
		.amdhsa_exception_fp_ieee_div_zero 0
		.amdhsa_exception_fp_ieee_overflow 0
		.amdhsa_exception_fp_ieee_underflow 0
		.amdhsa_exception_fp_ieee_inexact 0
		.amdhsa_exception_int_div_zero 0
	.end_amdhsa_kernel
	.section	.text._ZN9rocsparseL23coomvn_aos_atomic_loopsILj256ELj1El21rocsparse_complex_numIdES2_S2_S2_EEvlNS_24const_host_device_scalarIT5_EEPKT1_PKT2_PKT3_PT4_21rocsparse_index_base_b,"axG",@progbits,_ZN9rocsparseL23coomvn_aos_atomic_loopsILj256ELj1El21rocsparse_complex_numIdES2_S2_S2_EEvlNS_24const_host_device_scalarIT5_EEPKT1_PKT2_PKT3_PT4_21rocsparse_index_base_b,comdat
.Lfunc_end28:
	.size	_ZN9rocsparseL23coomvn_aos_atomic_loopsILj256ELj1El21rocsparse_complex_numIdES2_S2_S2_EEvlNS_24const_host_device_scalarIT5_EEPKT1_PKT2_PKT3_PT4_21rocsparse_index_base_b, .Lfunc_end28-_ZN9rocsparseL23coomvn_aos_atomic_loopsILj256ELj1El21rocsparse_complex_numIdES2_S2_S2_EEvlNS_24const_host_device_scalarIT5_EEPKT1_PKT2_PKT3_PT4_21rocsparse_index_base_b
                                        ; -- End function
	.set _ZN9rocsparseL23coomvn_aos_atomic_loopsILj256ELj1El21rocsparse_complex_numIdES2_S2_S2_EEvlNS_24const_host_device_scalarIT5_EEPKT1_PKT2_PKT3_PT4_21rocsparse_index_base_b.num_vgpr, 19
	.set _ZN9rocsparseL23coomvn_aos_atomic_loopsILj256ELj1El21rocsparse_complex_numIdES2_S2_S2_EEvlNS_24const_host_device_scalarIT5_EEPKT1_PKT2_PKT3_PT4_21rocsparse_index_base_b.num_agpr, 0
	.set _ZN9rocsparseL23coomvn_aos_atomic_loopsILj256ELj1El21rocsparse_complex_numIdES2_S2_S2_EEvlNS_24const_host_device_scalarIT5_EEPKT1_PKT2_PKT3_PT4_21rocsparse_index_base_b.numbered_sgpr, 12
	.set _ZN9rocsparseL23coomvn_aos_atomic_loopsILj256ELj1El21rocsparse_complex_numIdES2_S2_S2_EEvlNS_24const_host_device_scalarIT5_EEPKT1_PKT2_PKT3_PT4_21rocsparse_index_base_b.num_named_barrier, 0
	.set _ZN9rocsparseL23coomvn_aos_atomic_loopsILj256ELj1El21rocsparse_complex_numIdES2_S2_S2_EEvlNS_24const_host_device_scalarIT5_EEPKT1_PKT2_PKT3_PT4_21rocsparse_index_base_b.private_seg_size, 0
	.set _ZN9rocsparseL23coomvn_aos_atomic_loopsILj256ELj1El21rocsparse_complex_numIdES2_S2_S2_EEvlNS_24const_host_device_scalarIT5_EEPKT1_PKT2_PKT3_PT4_21rocsparse_index_base_b.uses_vcc, 1
	.set _ZN9rocsparseL23coomvn_aos_atomic_loopsILj256ELj1El21rocsparse_complex_numIdES2_S2_S2_EEvlNS_24const_host_device_scalarIT5_EEPKT1_PKT2_PKT3_PT4_21rocsparse_index_base_b.uses_flat_scratch, 0
	.set _ZN9rocsparseL23coomvn_aos_atomic_loopsILj256ELj1El21rocsparse_complex_numIdES2_S2_S2_EEvlNS_24const_host_device_scalarIT5_EEPKT1_PKT2_PKT3_PT4_21rocsparse_index_base_b.has_dyn_sized_stack, 0
	.set _ZN9rocsparseL23coomvn_aos_atomic_loopsILj256ELj1El21rocsparse_complex_numIdES2_S2_S2_EEvlNS_24const_host_device_scalarIT5_EEPKT1_PKT2_PKT3_PT4_21rocsparse_index_base_b.has_recursion, 0
	.set _ZN9rocsparseL23coomvn_aos_atomic_loopsILj256ELj1El21rocsparse_complex_numIdES2_S2_S2_EEvlNS_24const_host_device_scalarIT5_EEPKT1_PKT2_PKT3_PT4_21rocsparse_index_base_b.has_indirect_call, 0
	.section	.AMDGPU.csdata,"",@progbits
; Kernel info:
; codeLenInByte = 1612
; TotalNumSgprs: 16
; NumVgprs: 19
; ScratchSize: 0
; MemoryBound: 1
; FloatMode: 240
; IeeeMode: 1
; LDSByteSize: 6144 bytes/workgroup (compile time only)
; SGPRBlocks: 1
; VGPRBlocks: 4
; NumSGPRsForWavesPerEU: 16
; NumVGPRsForWavesPerEU: 19
; Occupancy: 10
; WaveLimiterHint : 1
; COMPUTE_PGM_RSRC2:SCRATCH_EN: 0
; COMPUTE_PGM_RSRC2:USER_SGPR: 6
; COMPUTE_PGM_RSRC2:TRAP_HANDLER: 0
; COMPUTE_PGM_RSRC2:TGID_X_EN: 1
; COMPUTE_PGM_RSRC2:TGID_Y_EN: 0
; COMPUTE_PGM_RSRC2:TGID_Z_EN: 0
; COMPUTE_PGM_RSRC2:TIDIG_COMP_CNT: 0
	.section	.text._ZN9rocsparseL17coomvt_aos_kernelILj1024El21rocsparse_complex_numIdES2_S2_S2_EEv20rocsparse_operation_lNS_24const_host_device_scalarIT4_EEPKT0_PKT1_PKT2_PT3_21rocsparse_index_base_b,"axG",@progbits,_ZN9rocsparseL17coomvt_aos_kernelILj1024El21rocsparse_complex_numIdES2_S2_S2_EEv20rocsparse_operation_lNS_24const_host_device_scalarIT4_EEPKT0_PKT1_PKT2_PT3_21rocsparse_index_base_b,comdat
	.globl	_ZN9rocsparseL17coomvt_aos_kernelILj1024El21rocsparse_complex_numIdES2_S2_S2_EEv20rocsparse_operation_lNS_24const_host_device_scalarIT4_EEPKT0_PKT1_PKT2_PT3_21rocsparse_index_base_b ; -- Begin function _ZN9rocsparseL17coomvt_aos_kernelILj1024El21rocsparse_complex_numIdES2_S2_S2_EEv20rocsparse_operation_lNS_24const_host_device_scalarIT4_EEPKT0_PKT1_PKT2_PT3_21rocsparse_index_base_b
	.p2align	8
	.type	_ZN9rocsparseL17coomvt_aos_kernelILj1024El21rocsparse_complex_numIdES2_S2_S2_EEv20rocsparse_operation_lNS_24const_host_device_scalarIT4_EEPKT0_PKT1_PKT2_PT3_21rocsparse_index_base_b,@function
_ZN9rocsparseL17coomvt_aos_kernelILj1024El21rocsparse_complex_numIdES2_S2_S2_EEv20rocsparse_operation_lNS_24const_host_device_scalarIT4_EEPKT0_PKT1_PKT2_PT3_21rocsparse_index_base_b: ; @_ZN9rocsparseL17coomvt_aos_kernelILj1024El21rocsparse_complex_numIdES2_S2_S2_EEv20rocsparse_operation_lNS_24const_host_device_scalarIT4_EEPKT0_PKT1_PKT2_PT3_21rocsparse_index_base_b
; %bb.0:
	s_load_dwordx2 s[2:3], s[4:5], 0x40
	s_load_dwordx4 s[8:11], s[4:5], 0x8
	s_add_u32 s0, s4, 16
	s_addc_u32 s1, s5, 0
	s_waitcnt lgkmcnt(0)
	s_bitcmp1_b32 s3, 0
	s_cselect_b32 s1, s1, s11
	s_cselect_b32 s0, s0, s10
	v_mov_b32_e32 v1, s0
	v_mov_b32_e32 v2, s1
	flat_load_dwordx4 v[1:4], v[1:2]
	s_waitcnt vmcnt(0) lgkmcnt(0)
	v_cmp_neq_f64_e32 vcc, 0, v[1:2]
	v_cmp_neq_f64_e64 s[0:1], 0, v[3:4]
	s_or_b64 s[0:1], vcc, s[0:1]
	s_and_saveexec_b64 s[10:11], s[0:1]
	s_cbranch_execz .LBB29_6
; %bb.1:
	s_load_dword s0, s[4:5], 0x54
	v_mov_b32_e32 v6, 0
	s_waitcnt lgkmcnt(0)
	s_and_b32 s0, s0, 0xffff
	s_mul_i32 s6, s6, s0
	v_add_u32_e32 v5, s6, v0
	v_cmp_gt_i64_e32 vcc, s[8:9], v[5:6]
	s_and_b64 exec, exec, vcc
	s_cbranch_execz .LBB29_6
; %bb.2:
	s_load_dwordx8 s[8:15], s[4:5], 0x20
	v_lshlrev_b64 v[9:10], 4, v[5:6]
	s_load_dword s0, s[4:5], 0x0
	s_waitcnt lgkmcnt(0)
	v_mov_b32_e32 v0, s9
	v_add_co_u32_e32 v5, vcc, s8, v9
	v_addc_co_u32_e32 v6, vcc, v0, v10, vcc
	global_load_dwordx4 v[5:8], v[5:6], off
	v_mov_b32_e32 v0, s11
	v_add_co_u32_e32 v9, vcc, s10, v9
	v_addc_co_u32_e32 v10, vcc, v0, v10, vcc
	global_load_dwordx4 v[13:16], v[9:10], off
	s_cmpk_eq_i32 s0, 0x71
	v_mov_b32_e32 v0, s13
	s_mov_b64 s[0:1], 0
	s_waitcnt vmcnt(1)
	v_subrev_co_u32_e32 v5, vcc, s2, v5
	v_subbrev_co_u32_e32 v6, vcc, 0, v6, vcc
	v_subrev_co_u32_e32 v7, vcc, s2, v7
	v_subbrev_co_u32_e32 v8, vcc, 0, v8, vcc
	v_lshlrev_b64 v[5:6], 4, v[5:6]
	s_waitcnt vmcnt(0)
	v_xor_b32_e32 v9, 0x80000000, v16
	s_cselect_b64 vcc, -1, 0
	v_cndmask_b32_e32 v16, v16, v9, vcc
	v_add_co_u32_e32 v5, vcc, s12, v5
	v_addc_co_u32_e32 v6, vcc, v0, v6, vcc
	v_lshlrev_b64 v[9:10], 4, v[7:8]
	global_load_dwordx4 v[5:8], v[5:6], off
	v_mul_f64 v[11:12], v[15:16], -v[3:4]
	v_mul_f64 v[15:16], v[1:2], v[15:16]
	v_mov_b32_e32 v0, s15
	v_add_co_u32_e32 v9, vcc, s14, v9
	v_addc_co_u32_e32 v10, vcc, v0, v10, vcc
	v_fma_f64 v[11:12], v[1:2], v[13:14], v[11:12]
	v_fma_f64 v[13:14], v[3:4], v[13:14], v[15:16]
	global_load_dwordx2 v[2:3], v[9:10], off
	s_waitcnt vmcnt(1)
	v_mul_f64 v[0:1], v[7:8], -v[13:14]
	v_fma_f64 v[15:16], v[11:12], v[5:6], v[0:1]
.LBB29_3:                               ; =>This Inner Loop Header: Depth=1
	s_waitcnt vmcnt(0)
	v_add_f64 v[0:1], v[2:3], v[15:16]
	global_atomic_cmpswap_x2 v[0:1], v[9:10], v[0:3], off glc
	s_waitcnt vmcnt(0)
	v_cmp_eq_u64_e32 vcc, v[0:1], v[2:3]
	v_mov_b32_e32 v3, v1
	s_or_b64 s[0:1], vcc, s[0:1]
	v_mov_b32_e32 v2, v0
	s_andn2_b64 exec, exec, s[0:1]
	s_cbranch_execnz .LBB29_3
; %bb.4:
	s_or_b64 exec, exec, s[0:1]
	global_load_dwordx2 v[2:3], v[9:10], off offset:8
	v_mul_f64 v[0:1], v[11:12], v[7:8]
	s_mov_b64 s[0:1], 0
	v_fma_f64 v[4:5], v[13:14], v[5:6], v[0:1]
.LBB29_5:                               ; =>This Inner Loop Header: Depth=1
	s_waitcnt vmcnt(0)
	v_add_f64 v[0:1], v[2:3], v[4:5]
	global_atomic_cmpswap_x2 v[0:1], v[9:10], v[0:3], off offset:8 glc
	s_waitcnt vmcnt(0)
	v_cmp_eq_u64_e32 vcc, v[0:1], v[2:3]
	v_mov_b32_e32 v3, v1
	s_or_b64 s[0:1], vcc, s[0:1]
	v_mov_b32_e32 v2, v0
	s_andn2_b64 exec, exec, s[0:1]
	s_cbranch_execnz .LBB29_5
.LBB29_6:
	s_endpgm
	.section	.rodata,"a",@progbits
	.p2align	6, 0x0
	.amdhsa_kernel _ZN9rocsparseL17coomvt_aos_kernelILj1024El21rocsparse_complex_numIdES2_S2_S2_EEv20rocsparse_operation_lNS_24const_host_device_scalarIT4_EEPKT0_PKT1_PKT2_PT3_21rocsparse_index_base_b
		.amdhsa_group_segment_fixed_size 0
		.amdhsa_private_segment_fixed_size 0
		.amdhsa_kernarg_size 328
		.amdhsa_user_sgpr_count 6
		.amdhsa_user_sgpr_private_segment_buffer 1
		.amdhsa_user_sgpr_dispatch_ptr 0
		.amdhsa_user_sgpr_queue_ptr 0
		.amdhsa_user_sgpr_kernarg_segment_ptr 1
		.amdhsa_user_sgpr_dispatch_id 0
		.amdhsa_user_sgpr_flat_scratch_init 0
		.amdhsa_user_sgpr_private_segment_size 0
		.amdhsa_uses_dynamic_stack 0
		.amdhsa_system_sgpr_private_segment_wavefront_offset 0
		.amdhsa_system_sgpr_workgroup_id_x 1
		.amdhsa_system_sgpr_workgroup_id_y 0
		.amdhsa_system_sgpr_workgroup_id_z 0
		.amdhsa_system_sgpr_workgroup_info 0
		.amdhsa_system_vgpr_workitem_id 0
		.amdhsa_next_free_vgpr 17
		.amdhsa_next_free_sgpr 16
		.amdhsa_reserve_vcc 1
		.amdhsa_reserve_flat_scratch 0
		.amdhsa_float_round_mode_32 0
		.amdhsa_float_round_mode_16_64 0
		.amdhsa_float_denorm_mode_32 3
		.amdhsa_float_denorm_mode_16_64 3
		.amdhsa_dx10_clamp 1
		.amdhsa_ieee_mode 1
		.amdhsa_fp16_overflow 0
		.amdhsa_exception_fp_ieee_invalid_op 0
		.amdhsa_exception_fp_denorm_src 0
		.amdhsa_exception_fp_ieee_div_zero 0
		.amdhsa_exception_fp_ieee_overflow 0
		.amdhsa_exception_fp_ieee_underflow 0
		.amdhsa_exception_fp_ieee_inexact 0
		.amdhsa_exception_int_div_zero 0
	.end_amdhsa_kernel
	.section	.text._ZN9rocsparseL17coomvt_aos_kernelILj1024El21rocsparse_complex_numIdES2_S2_S2_EEv20rocsparse_operation_lNS_24const_host_device_scalarIT4_EEPKT0_PKT1_PKT2_PT3_21rocsparse_index_base_b,"axG",@progbits,_ZN9rocsparseL17coomvt_aos_kernelILj1024El21rocsparse_complex_numIdES2_S2_S2_EEv20rocsparse_operation_lNS_24const_host_device_scalarIT4_EEPKT0_PKT1_PKT2_PT3_21rocsparse_index_base_b,comdat
.Lfunc_end29:
	.size	_ZN9rocsparseL17coomvt_aos_kernelILj1024El21rocsparse_complex_numIdES2_S2_S2_EEv20rocsparse_operation_lNS_24const_host_device_scalarIT4_EEPKT0_PKT1_PKT2_PT3_21rocsparse_index_base_b, .Lfunc_end29-_ZN9rocsparseL17coomvt_aos_kernelILj1024El21rocsparse_complex_numIdES2_S2_S2_EEv20rocsparse_operation_lNS_24const_host_device_scalarIT4_EEPKT0_PKT1_PKT2_PT3_21rocsparse_index_base_b
                                        ; -- End function
	.set _ZN9rocsparseL17coomvt_aos_kernelILj1024El21rocsparse_complex_numIdES2_S2_S2_EEv20rocsparse_operation_lNS_24const_host_device_scalarIT4_EEPKT0_PKT1_PKT2_PT3_21rocsparse_index_base_b.num_vgpr, 17
	.set _ZN9rocsparseL17coomvt_aos_kernelILj1024El21rocsparse_complex_numIdES2_S2_S2_EEv20rocsparse_operation_lNS_24const_host_device_scalarIT4_EEPKT0_PKT1_PKT2_PT3_21rocsparse_index_base_b.num_agpr, 0
	.set _ZN9rocsparseL17coomvt_aos_kernelILj1024El21rocsparse_complex_numIdES2_S2_S2_EEv20rocsparse_operation_lNS_24const_host_device_scalarIT4_EEPKT0_PKT1_PKT2_PT3_21rocsparse_index_base_b.numbered_sgpr, 16
	.set _ZN9rocsparseL17coomvt_aos_kernelILj1024El21rocsparse_complex_numIdES2_S2_S2_EEv20rocsparse_operation_lNS_24const_host_device_scalarIT4_EEPKT0_PKT1_PKT2_PT3_21rocsparse_index_base_b.num_named_barrier, 0
	.set _ZN9rocsparseL17coomvt_aos_kernelILj1024El21rocsparse_complex_numIdES2_S2_S2_EEv20rocsparse_operation_lNS_24const_host_device_scalarIT4_EEPKT0_PKT1_PKT2_PT3_21rocsparse_index_base_b.private_seg_size, 0
	.set _ZN9rocsparseL17coomvt_aos_kernelILj1024El21rocsparse_complex_numIdES2_S2_S2_EEv20rocsparse_operation_lNS_24const_host_device_scalarIT4_EEPKT0_PKT1_PKT2_PT3_21rocsparse_index_base_b.uses_vcc, 1
	.set _ZN9rocsparseL17coomvt_aos_kernelILj1024El21rocsparse_complex_numIdES2_S2_S2_EEv20rocsparse_operation_lNS_24const_host_device_scalarIT4_EEPKT0_PKT1_PKT2_PT3_21rocsparse_index_base_b.uses_flat_scratch, 0
	.set _ZN9rocsparseL17coomvt_aos_kernelILj1024El21rocsparse_complex_numIdES2_S2_S2_EEv20rocsparse_operation_lNS_24const_host_device_scalarIT4_EEPKT0_PKT1_PKT2_PT3_21rocsparse_index_base_b.has_dyn_sized_stack, 0
	.set _ZN9rocsparseL17coomvt_aos_kernelILj1024El21rocsparse_complex_numIdES2_S2_S2_EEv20rocsparse_operation_lNS_24const_host_device_scalarIT4_EEPKT0_PKT1_PKT2_PT3_21rocsparse_index_base_b.has_recursion, 0
	.set _ZN9rocsparseL17coomvt_aos_kernelILj1024El21rocsparse_complex_numIdES2_S2_S2_EEv20rocsparse_operation_lNS_24const_host_device_scalarIT4_EEPKT0_PKT1_PKT2_PT3_21rocsparse_index_base_b.has_indirect_call, 0
	.section	.AMDGPU.csdata,"",@progbits
; Kernel info:
; codeLenInByte = 484
; TotalNumSgprs: 20
; NumVgprs: 17
; ScratchSize: 0
; MemoryBound: 0
; FloatMode: 240
; IeeeMode: 1
; LDSByteSize: 0 bytes/workgroup (compile time only)
; SGPRBlocks: 2
; VGPRBlocks: 4
; NumSGPRsForWavesPerEU: 20
; NumVGPRsForWavesPerEU: 17
; Occupancy: 10
; WaveLimiterHint : 1
; COMPUTE_PGM_RSRC2:SCRATCH_EN: 0
; COMPUTE_PGM_RSRC2:USER_SGPR: 6
; COMPUTE_PGM_RSRC2:TRAP_HANDLER: 0
; COMPUTE_PGM_RSRC2:TGID_X_EN: 1
; COMPUTE_PGM_RSRC2:TGID_Y_EN: 0
; COMPUTE_PGM_RSRC2:TGID_Z_EN: 0
; COMPUTE_PGM_RSRC2:TIDIG_COMP_CNT: 0
	.section	.text._ZN9rocsparseL26coomvn_aos_segmented_loopsILj256El21rocsparse_complex_numIdES2_S2_S2_EEvlT0_NS_24const_host_device_scalarIT4_EEPKS3_PKT1_PKT2_PT3_PS3_PS5_21rocsparse_index_base_b,"axG",@progbits,_ZN9rocsparseL26coomvn_aos_segmented_loopsILj256El21rocsparse_complex_numIdES2_S2_S2_EEvlT0_NS_24const_host_device_scalarIT4_EEPKS3_PKT1_PKT2_PT3_PS3_PS5_21rocsparse_index_base_b,comdat
	.globl	_ZN9rocsparseL26coomvn_aos_segmented_loopsILj256El21rocsparse_complex_numIdES2_S2_S2_EEvlT0_NS_24const_host_device_scalarIT4_EEPKS3_PKT1_PKT2_PT3_PS3_PS5_21rocsparse_index_base_b ; -- Begin function _ZN9rocsparseL26coomvn_aos_segmented_loopsILj256El21rocsparse_complex_numIdES2_S2_S2_EEvlT0_NS_24const_host_device_scalarIT4_EEPKS3_PKT1_PKT2_PT3_PS3_PS5_21rocsparse_index_base_b
	.p2align	8
	.type	_ZN9rocsparseL26coomvn_aos_segmented_loopsILj256El21rocsparse_complex_numIdES2_S2_S2_EEvlT0_NS_24const_host_device_scalarIT4_EEPKS3_PKT1_PKT2_PT3_PS3_PS5_21rocsparse_index_base_b,@function
_ZN9rocsparseL26coomvn_aos_segmented_loopsILj256El21rocsparse_complex_numIdES2_S2_S2_EEvlT0_NS_24const_host_device_scalarIT4_EEPKS3_PKT1_PKT2_PT3_PS3_PS5_21rocsparse_index_base_b: ; @_ZN9rocsparseL26coomvn_aos_segmented_loopsILj256El21rocsparse_complex_numIdES2_S2_S2_EEvlT0_NS_24const_host_device_scalarIT4_EEPKS3_PKT1_PKT2_PT3_PS3_PS5_21rocsparse_index_base_b
; %bb.0:
	s_load_dwordx2 s[34:35], s[4:5], 0x50
	s_load_dwordx2 s[0:1], s[4:5], 0x10
	s_add_u32 s2, s4, 16
	s_addc_u32 s3, s5, 0
	s_waitcnt lgkmcnt(0)
	s_bitcmp1_b32 s35, 0
	s_cselect_b32 s1, s3, s1
	s_cselect_b32 s0, s2, s0
	v_mov_b32_e32 v1, s0
	v_mov_b32_e32 v2, s1
	flat_load_dwordx4 v[1:4], v[1:2]
	s_waitcnt vmcnt(0) lgkmcnt(0)
	v_cmp_neq_f64_e32 vcc, 0, v[1:2]
	v_cmp_neq_f64_e64 s[0:1], 0, v[3:4]
	s_or_b64 s[0:1], vcc, s[0:1]
	s_and_saveexec_b64 s[2:3], s[0:1]
	s_cbranch_execz .LBB30_87
; %bb.1:
	s_load_dwordx4 s[28:31], s[4:5], 0x0
	s_load_dwordx4 s[36:39], s[4:5], 0x20
	s_load_dwordx2 s[44:45], s[4:5], 0x30
	v_mov_b32_e32 v5, 0
	v_mov_b32_e32 v6, 0
	s_waitcnt lgkmcnt(0)
	s_mul_i32 s0, s6, s31
	s_mul_hi_u32 s1, s6, s30
	s_add_i32 s1, s1, s0
	s_mul_i32 s0, s6, s30
	s_lshl_b64 s[0:1], s[0:1], 8
	v_or_b32_e32 v11, s0, v0
	v_mov_b32_e32 v12, s1
	v_cmp_gt_i64_e32 vcc, s[28:29], v[11:12]
	v_mov_b32_e32 v9, -1
	v_mov_b32_e32 v8, v6
	s_mov_b32 s7, 0
	v_mov_b32_e32 v10, -1
	v_mov_b32_e32 v7, v5
	s_and_saveexec_b64 s[0:1], vcc
	s_cbranch_execz .LBB30_3
; %bb.2:
	v_lshlrev_b64 v[5:6], 4, v[11:12]
	v_mov_b32_e32 v8, s37
	v_add_co_u32_e32 v7, vcc, s36, v5
	v_addc_co_u32_e32 v8, vcc, v8, v6, vcc
	global_load_dwordx4 v[13:16], v[7:8], off glc slc
	v_mov_b32_e32 v7, s39
	v_add_co_u32_e32 v5, vcc, s38, v5
	v_addc_co_u32_e32 v6, vcc, v7, v6, vcc
	v_mov_b32_e32 v17, s45
	s_ashr_i32 s35, s34, 31
	s_lshl_b64 s[2:3], s[34:35], 4
	v_mov_b32_e32 v18, s3
	global_load_dwordx4 v[5:8], v[5:6], off glc slc
	s_waitcnt vmcnt(1)
	v_lshlrev_b64 v[9:10], 4, v[15:16]
	v_add_co_u32_e32 v9, vcc, s44, v9
	v_addc_co_u32_e32 v10, vcc, v17, v10, vcc
	v_subrev_co_u32_e32 v9, vcc, s2, v9
	v_subb_co_u32_e32 v10, vcc, v10, v18, vcc
	global_load_dwordx4 v[15:18], v[9:10], off
	s_waitcnt vmcnt(0)
	v_mul_f64 v[9:10], v[17:18], -v[7:8]
	v_mul_f64 v[17:18], v[5:6], v[17:18]
	v_fma_f64 v[5:6], v[5:6], v[15:16], v[9:10]
	v_fma_f64 v[7:8], v[7:8], v[15:16], v[17:18]
	v_subrev_co_u32_e32 v9, vcc, s34, v13
	v_subbrev_co_u32_e32 v10, vcc, 0, v14, vcc
.LBB30_3:
	s_or_b64 exec, exec, s[0:1]
	v_lshlrev_b32_e32 v13, 3, v0
	v_or_b32_e32 v15, 0x1000, v13
	v_lshlrev_b32_e32 v16, 4, v0
	v_cmp_eq_u32_e64 s[0:1], 0, v0
	v_cmp_ne_u32_e64 s[2:3], 0, v0
	v_add_u32_e32 v17, -8, v15
	ds_write_b64 v13, v[9:10] offset:4096
	ds_write_b128 v16, v[5:8]
	s_waitcnt lgkmcnt(0)
	s_barrier
	s_and_saveexec_b64 s[8:9], s[2:3]
	s_cbranch_execz .LBB30_7
; %bb.4:
	ds_read_b64 v[13:14], v17
	s_waitcnt lgkmcnt(0)
	v_cmp_eq_u64_e32 vcc, v[9:10], v[13:14]
	s_and_saveexec_b64 s[10:11], vcc
	s_cbranch_execz .LBB30_6
; %bb.5:
	v_add_u32_e32 v13, -16, v16
	ds_read_b128 v[18:21], v13
	s_waitcnt lgkmcnt(0)
	v_add_f64 v[5:6], v[5:6], v[18:19]
	v_add_f64 v[7:8], v[7:8], v[20:21]
.LBB30_6:
	s_or_b64 exec, exec, s[10:11]
.LBB30_7:
	s_or_b64 exec, exec, s[8:9]
	v_cmp_lt_u32_e64 s[22:23], 1, v0
	v_add_u32_e32 v18, -16, v15
	s_barrier
	ds_write_b128 v16, v[5:8]
	s_waitcnt lgkmcnt(0)
	s_barrier
	s_and_saveexec_b64 s[8:9], s[22:23]
	s_cbranch_execz .LBB30_11
; %bb.8:
	ds_read_b64 v[13:14], v18
	s_waitcnt lgkmcnt(0)
	v_cmp_eq_u64_e32 vcc, v[9:10], v[13:14]
	s_and_saveexec_b64 s[10:11], vcc
	s_cbranch_execz .LBB30_10
; %bb.9:
	v_subrev_u32_e32 v13, 32, v16
	ds_read_b128 v[19:22], v13
	s_waitcnt lgkmcnt(0)
	v_add_f64 v[5:6], v[5:6], v[19:20]
	v_add_f64 v[7:8], v[7:8], v[21:22]
.LBB30_10:
	s_or_b64 exec, exec, s[10:11]
.LBB30_11:
	s_or_b64 exec, exec, s[8:9]
	v_cmp_lt_u32_e64 s[8:9], 3, v0
	v_subrev_u32_e32 v19, 32, v15
	s_barrier
	ds_write_b128 v16, v[5:8]
	s_waitcnt lgkmcnt(0)
	s_barrier
	s_and_saveexec_b64 s[10:11], s[8:9]
	s_cbranch_execz .LBB30_15
; %bb.12:
	ds_read_b64 v[13:14], v19
	s_waitcnt lgkmcnt(0)
	v_cmp_eq_u64_e32 vcc, v[9:10], v[13:14]
	s_and_saveexec_b64 s[12:13], vcc
	s_cbranch_execz .LBB30_14
; %bb.13:
	v_subrev_u32_e32 v13, 64, v16
	ds_read_b128 v[20:23], v13
	s_waitcnt lgkmcnt(0)
	v_add_f64 v[5:6], v[5:6], v[20:21]
	v_add_f64 v[7:8], v[7:8], v[22:23]
.LBB30_14:
	s_or_b64 exec, exec, s[12:13]
.LBB30_15:
	s_or_b64 exec, exec, s[10:11]
	v_cmp_lt_u32_e64 s[10:11], 7, v0
	v_subrev_u32_e32 v20, 64, v15
	s_barrier
	ds_write_b128 v16, v[5:8]
	s_waitcnt lgkmcnt(0)
	s_barrier
	s_and_saveexec_b64 s[12:13], s[10:11]
	s_cbranch_execz .LBB30_19
; %bb.16:
	ds_read_b64 v[13:14], v20
	s_waitcnt lgkmcnt(0)
	v_cmp_eq_u64_e32 vcc, v[9:10], v[13:14]
	s_and_saveexec_b64 s[14:15], vcc
	s_cbranch_execz .LBB30_18
; %bb.17:
	v_add_u32_e32 v13, 0xffffff80, v16
	ds_read_b128 v[21:24], v13
	s_waitcnt lgkmcnt(0)
	v_add_f64 v[5:6], v[5:6], v[21:22]
	v_add_f64 v[7:8], v[7:8], v[23:24]
.LBB30_18:
	s_or_b64 exec, exec, s[14:15]
.LBB30_19:
	s_or_b64 exec, exec, s[12:13]
	v_cmp_lt_u32_e64 s[12:13], 15, v0
	s_barrier
	ds_write_b128 v16, v[5:8]
	s_waitcnt lgkmcnt(0)
	s_barrier
	s_and_saveexec_b64 s[14:15], s[12:13]
	s_cbranch_execz .LBB30_23
; %bb.20:
	v_add_u32_e32 v13, 0xffffff80, v15
	ds_read_b64 v[13:14], v13
	s_waitcnt lgkmcnt(0)
	v_cmp_eq_u64_e32 vcc, v[9:10], v[13:14]
	s_and_saveexec_b64 s[16:17], vcc
	s_cbranch_execz .LBB30_22
; %bb.21:
	v_add_u32_e32 v13, 0xffffff00, v16
	ds_read_b128 v[21:24], v13
	s_waitcnt lgkmcnt(0)
	v_add_f64 v[5:6], v[5:6], v[21:22]
	v_add_f64 v[7:8], v[7:8], v[23:24]
.LBB30_22:
	s_or_b64 exec, exec, s[16:17]
.LBB30_23:
	s_or_b64 exec, exec, s[14:15]
	v_cmp_lt_u32_e64 s[14:15], 31, v0
	s_barrier
	ds_write_b128 v16, v[5:8]
	s_waitcnt lgkmcnt(0)
	s_barrier
	s_and_saveexec_b64 s[16:17], s[14:15]
	s_cbranch_execz .LBB30_27
; %bb.24:
	v_add_u32_e32 v13, 0xffffff00, v15
	ds_read_b64 v[13:14], v13
	s_waitcnt lgkmcnt(0)
	v_cmp_eq_u64_e32 vcc, v[9:10], v[13:14]
	s_and_saveexec_b64 s[18:19], vcc
	s_cbranch_execz .LBB30_26
; %bb.25:
	v_add_u32_e32 v13, 0xfffffe00, v16
	ds_read_b128 v[21:24], v13
	s_waitcnt lgkmcnt(0)
	v_add_f64 v[5:6], v[5:6], v[21:22]
	v_add_f64 v[7:8], v[7:8], v[23:24]
.LBB30_26:
	s_or_b64 exec, exec, s[18:19]
.LBB30_27:
	;; [unrolled: 24-line block ×3, first 2 shown]
	s_or_b64 exec, exec, s[18:19]
	s_load_dwordx2 s[40:41], s[4:5], 0x38
	s_movk_i32 s18, 0x7f
	v_cmp_lt_u32_e64 s[18:19], s18, v0
	s_waitcnt lgkmcnt(0)
	s_barrier
	ds_write_b128 v16, v[5:8]
	s_waitcnt lgkmcnt(0)
	s_barrier
	s_and_saveexec_b64 s[20:21], s[18:19]
	s_cbranch_execz .LBB30_35
; %bb.32:
	v_add_u32_e32 v13, 0xfffffc00, v15
	ds_read_b64 v[13:14], v13
	s_waitcnt lgkmcnt(0)
	v_cmp_eq_u64_e32 vcc, v[9:10], v[13:14]
	s_and_saveexec_b64 s[24:25], vcc
	s_cbranch_execz .LBB30_34
; %bb.33:
	v_add_u32_e32 v13, 0xfffff800, v16
	ds_read_b128 v[21:24], v13
	s_waitcnt lgkmcnt(0)
	v_add_f64 v[5:6], v[5:6], v[21:22]
	v_add_f64 v[7:8], v[7:8], v[23:24]
.LBB30_34:
	s_or_b64 exec, exec, s[24:25]
.LBB30_35:
	s_or_b64 exec, exec, s[20:21]
	s_movk_i32 s20, 0xff
	v_cmp_gt_u32_e64 s[20:21], s20, v0
	s_barrier
	ds_write_b128 v16, v[5:8]
	s_waitcnt lgkmcnt(0)
	s_barrier
	s_and_saveexec_b64 s[26:27], s[20:21]
	s_cbranch_execz .LBB30_38
; %bb.36:
	ds_read_b64 v[13:14], v15 offset:8
	v_cmp_lt_i64_e64 s[24:25], -1, v[9:10]
	s_waitcnt lgkmcnt(0)
	v_cmp_ne_u64_e32 vcc, v[9:10], v[13:14]
	s_and_b64 s[24:25], s[24:25], vcc
	s_and_b64 exec, exec, s[24:25]
	s_cbranch_execz .LBB30_38
; %bb.37:
	v_lshlrev_b64 v[13:14], 4, v[9:10]
	v_mov_b32_e32 v21, s41
	v_add_co_u32_e32 v13, vcc, s40, v13
	v_addc_co_u32_e32 v14, vcc, v21, v14, vcc
	global_load_dwordx4 v[21:24], v[13:14], off
	s_waitcnt vmcnt(0)
	v_fma_f64 v[21:22], v[1:2], v[5:6], v[21:22]
	v_fma_f64 v[23:24], v[3:4], v[5:6], v[23:24]
	v_fma_f64 v[21:22], -v[3:4], v[7:8], v[21:22]
	v_fma_f64 v[23:24], v[1:2], v[7:8], v[23:24]
	global_store_dwordx4 v[13:14], v[21:24], off
.LBB30_38:
	s_or_b64 exec, exec, s[26:27]
	s_load_dwordx4 s[24:27], s[4:5], 0x40
	v_cmp_lt_i64_e64 s[4:5], s[30:31], 2
	s_and_b64 vcc, exec, s[4:5]
	s_cbranch_vccnz .LBB30_85
; %bb.39:
	s_add_u32 s42, s30, -1
	s_addc_u32 s43, s31, -1
	s_ashr_i32 s35, s34, 31
	s_lshl_b64 s[4:5], s[34:35], 4
	s_sub_u32 s33, s44, s4
	s_subb_u32 s35, s45, s5
	s_mul_i32 s4, s31, s6
	s_mul_hi_u32 s5, s30, s6
	s_add_i32 s5, s5, s4
	s_mul_i32 s4, s30, s6
	s_lshl_b64 s[4:5], s[4:5], 12
	s_add_u32 s44, s36, s4
	s_addc_u32 s45, s37, s5
	s_add_u32 s38, s38, s4
	s_movk_i32 s4, 0x100
	v_add_co_u32_e32 v11, vcc, s4, v11
	v_add_u32_e32 v21, 0xffffff80, v15
	v_add_u32_e32 v22, 0xffffff00, v16
	;; [unrolled: 1-line block ×8, first 2 shown]
	v_mov_b32_e32 v29, 0
	s_addc_u32 s39, s39, s5
	v_addc_co_u32_e32 v12, vcc, 0, v12, vcc
	s_mov_b64 s[30:31], 0
	s_movk_i32 s46, 0x1000
	s_branch .LBB30_41
.LBB30_40:                              ;   in Loop: Header=BB30_41 Depth=1
	s_or_b64 exec, exec, s[36:37]
	s_add_u32 s44, s44, 0x1000
	s_addc_u32 s45, s45, 0
	s_add_u32 s38, s38, 0x1000
	s_addc_u32 s39, s39, 0
	;; [unrolled: 2-line block ×3, first 2 shown]
	v_mov_b32_e32 v13, s30
	v_mov_b32_e32 v14, s31
	v_add_co_u32_e32 v11, vcc, 0x100, v11
	v_cmp_le_u64_e64 s[4:5], s[42:43], v[13:14]
	v_addc_co_u32_e32 v12, vcc, 0, v12, vcc
	s_and_b64 vcc, exec, s[4:5]
	s_cbranch_vccnz .LBB30_85
.LBB30_41:                              ; =>This Inner Loop Header: Depth=1
	v_cmp_gt_i64_e32 vcc, s[28:29], v[11:12]
	v_mov_b32_e32 v9, -1
	v_mov_b32_e32 v5, 0
	v_mov_b32_e32 v7, 0
	v_mov_b32_e32 v10, -1
	v_mov_b32_e32 v6, 0
	v_mov_b32_e32 v8, 0
	s_and_saveexec_b64 s[4:5], vcc
	s_cbranch_execz .LBB30_43
; %bb.42:                               ;   in Loop: Header=BB30_41 Depth=1
	v_mov_b32_e32 v5, s45
	v_add_co_u32_e32 v6, vcc, s44, v16
	v_addc_co_u32_e32 v7, vcc, 0, v5, vcc
	v_add_co_u32_e32 v5, vcc, 0x1000, v6
	v_addc_co_u32_e32 v6, vcc, 0, v7, vcc
	global_load_dwordx4 v[30:33], v[5:6], off glc slc
	v_mov_b32_e32 v5, s39
	v_add_co_u32_e32 v6, vcc, s38, v16
	v_addc_co_u32_e32 v7, vcc, 0, v5, vcc
	v_add_co_u32_e32 v5, vcc, s46, v6
	v_addc_co_u32_e32 v6, vcc, 0, v7, vcc
	v_mov_b32_e32 v13, s35
	global_load_dwordx4 v[5:8], v[5:6], off glc slc
	s_waitcnt vmcnt(1)
	v_lshlrev_b64 v[9:10], 4, v[32:33]
	v_add_co_u32_e32 v9, vcc, s33, v9
	v_addc_co_u32_e32 v10, vcc, v13, v10, vcc
	global_load_dwordx4 v[32:35], v[9:10], off
	s_waitcnt vmcnt(0)
	v_mul_f64 v[9:10], v[34:35], -v[7:8]
	v_mul_f64 v[13:14], v[5:6], v[34:35]
	v_fma_f64 v[5:6], v[5:6], v[32:33], v[9:10]
	v_fma_f64 v[7:8], v[7:8], v[32:33], v[13:14]
	v_subrev_co_u32_e32 v9, vcc, s34, v30
	v_subbrev_co_u32_e32 v10, vcc, 0, v31, vcc
.LBB30_43:                              ;   in Loop: Header=BB30_41 Depth=1
	s_or_b64 exec, exec, s[4:5]
	s_and_saveexec_b64 s[4:5], s[0:1]
	s_cbranch_execz .LBB30_50
; %bb.44:                               ;   in Loop: Header=BB30_41 Depth=1
	ds_read_b64 v[13:14], v29 offset:6136
	s_waitcnt lgkmcnt(0)
	v_cmp_ne_u64_e32 vcc, v[9:10], v[13:14]
	s_and_saveexec_b64 s[36:37], vcc
	s_xor_b64 s[36:37], exec, s[36:37]
	s_cbranch_execz .LBB30_47
; %bb.45:                               ;   in Loop: Header=BB30_41 Depth=1
	v_cmp_gt_i64_e32 vcc, 0, v[13:14]
	s_cbranch_vccnz .LBB30_47
; %bb.46:                               ;   in Loop: Header=BB30_41 Depth=1
	v_lshlrev_b64 v[13:14], 4, v[13:14]
	v_mov_b32_e32 v30, s41
	v_add_co_u32_e32 v13, vcc, s40, v13
	v_addc_co_u32_e32 v14, vcc, v30, v14, vcc
	global_load_dwordx4 v[30:33], v[13:14], off
	ds_read_b128 v[34:37], v29 offset:4080
	s_waitcnt vmcnt(0) lgkmcnt(0)
	v_fma_f64 v[30:31], v[1:2], v[34:35], v[30:31]
	v_fma_f64 v[32:33], v[3:4], v[34:35], v[32:33]
	v_fma_f64 v[30:31], -v[3:4], v[36:37], v[30:31]
	v_fma_f64 v[32:33], v[1:2], v[36:37], v[32:33]
	global_store_dwordx4 v[13:14], v[30:33], off
.LBB30_47:                              ;   in Loop: Header=BB30_41 Depth=1
	s_andn2_saveexec_b64 s[36:37], s[36:37]
	s_cbranch_execz .LBB30_49
; %bb.48:                               ;   in Loop: Header=BB30_41 Depth=1
	ds_read_b128 v[30:33], v29 offset:4080
	s_waitcnt lgkmcnt(0)
	v_add_f64 v[5:6], v[5:6], v[30:31]
	v_add_f64 v[7:8], v[7:8], v[32:33]
.LBB30_49:                              ;   in Loop: Header=BB30_41 Depth=1
	s_or_b64 exec, exec, s[36:37]
.LBB30_50:                              ;   in Loop: Header=BB30_41 Depth=1
	s_or_b64 exec, exec, s[4:5]
	s_waitcnt vmcnt(0) lgkmcnt(0)
	s_barrier
	ds_write_b64 v15, v[9:10]
	ds_write_b128 v16, v[5:8]
	s_waitcnt lgkmcnt(0)
	s_barrier
	s_and_saveexec_b64 s[4:5], s[2:3]
	s_cbranch_execz .LBB30_54
; %bb.51:                               ;   in Loop: Header=BB30_41 Depth=1
	ds_read_b64 v[13:14], v17
	s_waitcnt lgkmcnt(0)
	v_cmp_eq_u64_e32 vcc, v[9:10], v[13:14]
	s_and_saveexec_b64 s[36:37], vcc
	s_cbranch_execz .LBB30_53
; %bb.52:                               ;   in Loop: Header=BB30_41 Depth=1
	v_add_u32_e32 v13, -16, v16
	ds_read_b128 v[30:33], v13
	s_waitcnt lgkmcnt(0)
	v_add_f64 v[5:6], v[5:6], v[30:31]
	v_add_f64 v[7:8], v[7:8], v[32:33]
.LBB30_53:                              ;   in Loop: Header=BB30_41 Depth=1
	s_or_b64 exec, exec, s[36:37]
.LBB30_54:                              ;   in Loop: Header=BB30_41 Depth=1
	s_or_b64 exec, exec, s[4:5]
	s_barrier
	ds_write_b128 v16, v[5:8]
	s_waitcnt lgkmcnt(0)
	s_barrier
	s_and_saveexec_b64 s[4:5], s[22:23]
	s_cbranch_execz .LBB30_58
; %bb.55:                               ;   in Loop: Header=BB30_41 Depth=1
	ds_read_b64 v[13:14], v18
	s_waitcnt lgkmcnt(0)
	v_cmp_eq_u64_e32 vcc, v[9:10], v[13:14]
	s_and_saveexec_b64 s[36:37], vcc
	s_cbranch_execz .LBB30_57
; %bb.56:                               ;   in Loop: Header=BB30_41 Depth=1
	v_subrev_u32_e32 v13, 32, v16
	ds_read_b128 v[30:33], v13
	s_waitcnt lgkmcnt(0)
	v_add_f64 v[5:6], v[5:6], v[30:31]
	v_add_f64 v[7:8], v[7:8], v[32:33]
.LBB30_57:                              ;   in Loop: Header=BB30_41 Depth=1
	s_or_b64 exec, exec, s[36:37]
.LBB30_58:                              ;   in Loop: Header=BB30_41 Depth=1
	s_or_b64 exec, exec, s[4:5]
	s_barrier
	ds_write_b128 v16, v[5:8]
	s_waitcnt lgkmcnt(0)
	s_barrier
	s_and_saveexec_b64 s[4:5], s[8:9]
	s_cbranch_execz .LBB30_62
; %bb.59:                               ;   in Loop: Header=BB30_41 Depth=1
	ds_read_b64 v[13:14], v19
	s_waitcnt lgkmcnt(0)
	v_cmp_eq_u64_e32 vcc, v[9:10], v[13:14]
	s_and_saveexec_b64 s[36:37], vcc
	s_cbranch_execz .LBB30_61
; %bb.60:                               ;   in Loop: Header=BB30_41 Depth=1
	v_subrev_u32_e32 v13, 64, v16
	ds_read_b128 v[30:33], v13
	s_waitcnt lgkmcnt(0)
	v_add_f64 v[5:6], v[5:6], v[30:31]
	v_add_f64 v[7:8], v[7:8], v[32:33]
.LBB30_61:                              ;   in Loop: Header=BB30_41 Depth=1
	s_or_b64 exec, exec, s[36:37]
.LBB30_62:                              ;   in Loop: Header=BB30_41 Depth=1
	s_or_b64 exec, exec, s[4:5]
	s_barrier
	ds_write_b128 v16, v[5:8]
	s_waitcnt lgkmcnt(0)
	s_barrier
	s_and_saveexec_b64 s[4:5], s[10:11]
	s_cbranch_execz .LBB30_66
; %bb.63:                               ;   in Loop: Header=BB30_41 Depth=1
	ds_read_b64 v[13:14], v20
	s_waitcnt lgkmcnt(0)
	v_cmp_eq_u64_e32 vcc, v[9:10], v[13:14]
	s_and_saveexec_b64 s[36:37], vcc
	s_cbranch_execz .LBB30_65
; %bb.64:                               ;   in Loop: Header=BB30_41 Depth=1
	v_add_u32_e32 v13, 0xffffff80, v16
	ds_read_b128 v[30:33], v13
	s_waitcnt lgkmcnt(0)
	v_add_f64 v[5:6], v[5:6], v[30:31]
	v_add_f64 v[7:8], v[7:8], v[32:33]
.LBB30_65:                              ;   in Loop: Header=BB30_41 Depth=1
	s_or_b64 exec, exec, s[36:37]
.LBB30_66:                              ;   in Loop: Header=BB30_41 Depth=1
	s_or_b64 exec, exec, s[4:5]
	s_barrier
	ds_write_b128 v16, v[5:8]
	s_waitcnt lgkmcnt(0)
	s_barrier
	s_and_saveexec_b64 s[4:5], s[12:13]
	s_cbranch_execz .LBB30_70
; %bb.67:                               ;   in Loop: Header=BB30_41 Depth=1
	ds_read_b64 v[13:14], v21
	s_waitcnt lgkmcnt(0)
	v_cmp_eq_u64_e32 vcc, v[9:10], v[13:14]
	s_and_saveexec_b64 s[36:37], vcc
	s_cbranch_execz .LBB30_69
; %bb.68:                               ;   in Loop: Header=BB30_41 Depth=1
	ds_read_b128 v[30:33], v22
	s_waitcnt lgkmcnt(0)
	v_add_f64 v[5:6], v[5:6], v[30:31]
	v_add_f64 v[7:8], v[7:8], v[32:33]
.LBB30_69:                              ;   in Loop: Header=BB30_41 Depth=1
	s_or_b64 exec, exec, s[36:37]
.LBB30_70:                              ;   in Loop: Header=BB30_41 Depth=1
	s_or_b64 exec, exec, s[4:5]
	s_barrier
	ds_write_b128 v16, v[5:8]
	s_waitcnt lgkmcnt(0)
	s_barrier
	s_and_saveexec_b64 s[4:5], s[14:15]
	s_cbranch_execz .LBB30_74
; %bb.71:                               ;   in Loop: Header=BB30_41 Depth=1
	ds_read_b64 v[13:14], v23
	s_waitcnt lgkmcnt(0)
	v_cmp_eq_u64_e32 vcc, v[9:10], v[13:14]
	s_and_saveexec_b64 s[36:37], vcc
	s_cbranch_execz .LBB30_73
; %bb.72:                               ;   in Loop: Header=BB30_41 Depth=1
	ds_read_b128 v[30:33], v24
	s_waitcnt lgkmcnt(0)
	v_add_f64 v[5:6], v[5:6], v[30:31]
	v_add_f64 v[7:8], v[7:8], v[32:33]
.LBB30_73:                              ;   in Loop: Header=BB30_41 Depth=1
	s_or_b64 exec, exec, s[36:37]
.LBB30_74:                              ;   in Loop: Header=BB30_41 Depth=1
	;; [unrolled: 21-line block ×4, first 2 shown]
	s_or_b64 exec, exec, s[4:5]
	s_barrier
	ds_write_b128 v16, v[5:8]
	s_waitcnt lgkmcnt(0)
	s_barrier
	s_and_saveexec_b64 s[36:37], s[20:21]
	s_cbranch_execz .LBB30_40
; %bb.83:                               ;   in Loop: Header=BB30_41 Depth=1
	ds_read_b64 v[13:14], v15 offset:8
	v_cmp_lt_i64_e64 s[4:5], -1, v[9:10]
	s_waitcnt lgkmcnt(0)
	v_cmp_ne_u64_e32 vcc, v[9:10], v[13:14]
	s_and_b64 s[4:5], s[4:5], vcc
	s_and_b64 exec, exec, s[4:5]
	s_cbranch_execz .LBB30_40
; %bb.84:                               ;   in Loop: Header=BB30_41 Depth=1
	v_lshlrev_b64 v[13:14], 4, v[9:10]
	v_mov_b32_e32 v30, s41
	v_add_co_u32_e32 v13, vcc, s40, v13
	v_addc_co_u32_e32 v14, vcc, v30, v14, vcc
	global_load_dwordx4 v[30:33], v[13:14], off
	s_waitcnt vmcnt(0)
	v_fma_f64 v[30:31], v[1:2], v[5:6], v[30:31]
	v_fma_f64 v[32:33], v[3:4], v[5:6], v[32:33]
	v_fma_f64 v[30:31], -v[3:4], v[7:8], v[30:31]
	v_fma_f64 v[32:33], v[1:2], v[7:8], v[32:33]
	global_store_dwordx4 v[13:14], v[30:33], off
	s_branch .LBB30_40
.LBB30_85:
	s_movk_i32 s0, 0xff
	v_cmp_eq_u32_e32 vcc, s0, v0
	s_and_b64 exec, exec, vcc
	s_cbranch_execz .LBB30_87
; %bb.86:
	v_mul_f64 v[11:12], v[7:8], -v[3:4]
	v_mul_f64 v[7:8], v[1:2], v[7:8]
	s_lshl_b64 s[0:1], s[6:7], 3
	s_waitcnt lgkmcnt(0)
	s_add_u32 s0, s24, s0
	s_addc_u32 s1, s25, s1
	v_fma_f64 v[0:1], v[1:2], v[5:6], v[11:12]
	v_fma_f64 v[2:3], v[3:4], v[5:6], v[7:8]
	v_mov_b32_e32 v4, 0
	global_store_dwordx2 v4, v[9:10], s[0:1] glc slc
	s_lshl_b64 s[0:1], s[6:7], 4
	s_add_u32 s0, s26, s0
	s_addc_u32 s1, s27, s1
	global_store_dwordx4 v4, v[0:3], s[0:1] glc slc
.LBB30_87:
	s_endpgm
	.section	.rodata,"a",@progbits
	.p2align	6, 0x0
	.amdhsa_kernel _ZN9rocsparseL26coomvn_aos_segmented_loopsILj256El21rocsparse_complex_numIdES2_S2_S2_EEvlT0_NS_24const_host_device_scalarIT4_EEPKS3_PKT1_PKT2_PT3_PS3_PS5_21rocsparse_index_base_b
		.amdhsa_group_segment_fixed_size 6144
		.amdhsa_private_segment_fixed_size 0
		.amdhsa_kernarg_size 88
		.amdhsa_user_sgpr_count 6
		.amdhsa_user_sgpr_private_segment_buffer 1
		.amdhsa_user_sgpr_dispatch_ptr 0
		.amdhsa_user_sgpr_queue_ptr 0
		.amdhsa_user_sgpr_kernarg_segment_ptr 1
		.amdhsa_user_sgpr_dispatch_id 0
		.amdhsa_user_sgpr_flat_scratch_init 0
		.amdhsa_user_sgpr_private_segment_size 0
		.amdhsa_uses_dynamic_stack 0
		.amdhsa_system_sgpr_private_segment_wavefront_offset 0
		.amdhsa_system_sgpr_workgroup_id_x 1
		.amdhsa_system_sgpr_workgroup_id_y 0
		.amdhsa_system_sgpr_workgroup_id_z 0
		.amdhsa_system_sgpr_workgroup_info 0
		.amdhsa_system_vgpr_workitem_id 0
		.amdhsa_next_free_vgpr 38
		.amdhsa_next_free_sgpr 47
		.amdhsa_reserve_vcc 1
		.amdhsa_reserve_flat_scratch 0
		.amdhsa_float_round_mode_32 0
		.amdhsa_float_round_mode_16_64 0
		.amdhsa_float_denorm_mode_32 3
		.amdhsa_float_denorm_mode_16_64 3
		.amdhsa_dx10_clamp 1
		.amdhsa_ieee_mode 1
		.amdhsa_fp16_overflow 0
		.amdhsa_exception_fp_ieee_invalid_op 0
		.amdhsa_exception_fp_denorm_src 0
		.amdhsa_exception_fp_ieee_div_zero 0
		.amdhsa_exception_fp_ieee_overflow 0
		.amdhsa_exception_fp_ieee_underflow 0
		.amdhsa_exception_fp_ieee_inexact 0
		.amdhsa_exception_int_div_zero 0
	.end_amdhsa_kernel
	.section	.text._ZN9rocsparseL26coomvn_aos_segmented_loopsILj256El21rocsparse_complex_numIdES2_S2_S2_EEvlT0_NS_24const_host_device_scalarIT4_EEPKS3_PKT1_PKT2_PT3_PS3_PS5_21rocsparse_index_base_b,"axG",@progbits,_ZN9rocsparseL26coomvn_aos_segmented_loopsILj256El21rocsparse_complex_numIdES2_S2_S2_EEvlT0_NS_24const_host_device_scalarIT4_EEPKS3_PKT1_PKT2_PT3_PS3_PS5_21rocsparse_index_base_b,comdat
.Lfunc_end30:
	.size	_ZN9rocsparseL26coomvn_aos_segmented_loopsILj256El21rocsparse_complex_numIdES2_S2_S2_EEvlT0_NS_24const_host_device_scalarIT4_EEPKS3_PKT1_PKT2_PT3_PS3_PS5_21rocsparse_index_base_b, .Lfunc_end30-_ZN9rocsparseL26coomvn_aos_segmented_loopsILj256El21rocsparse_complex_numIdES2_S2_S2_EEvlT0_NS_24const_host_device_scalarIT4_EEPKS3_PKT1_PKT2_PT3_PS3_PS5_21rocsparse_index_base_b
                                        ; -- End function
	.set _ZN9rocsparseL26coomvn_aos_segmented_loopsILj256El21rocsparse_complex_numIdES2_S2_S2_EEvlT0_NS_24const_host_device_scalarIT4_EEPKS3_PKT1_PKT2_PT3_PS3_PS5_21rocsparse_index_base_b.num_vgpr, 38
	.set _ZN9rocsparseL26coomvn_aos_segmented_loopsILj256El21rocsparse_complex_numIdES2_S2_S2_EEvlT0_NS_24const_host_device_scalarIT4_EEPKS3_PKT1_PKT2_PT3_PS3_PS5_21rocsparse_index_base_b.num_agpr, 0
	.set _ZN9rocsparseL26coomvn_aos_segmented_loopsILj256El21rocsparse_complex_numIdES2_S2_S2_EEvlT0_NS_24const_host_device_scalarIT4_EEPKS3_PKT1_PKT2_PT3_PS3_PS5_21rocsparse_index_base_b.numbered_sgpr, 47
	.set _ZN9rocsparseL26coomvn_aos_segmented_loopsILj256El21rocsparse_complex_numIdES2_S2_S2_EEvlT0_NS_24const_host_device_scalarIT4_EEPKS3_PKT1_PKT2_PT3_PS3_PS5_21rocsparse_index_base_b.num_named_barrier, 0
	.set _ZN9rocsparseL26coomvn_aos_segmented_loopsILj256El21rocsparse_complex_numIdES2_S2_S2_EEvlT0_NS_24const_host_device_scalarIT4_EEPKS3_PKT1_PKT2_PT3_PS3_PS5_21rocsparse_index_base_b.private_seg_size, 0
	.set _ZN9rocsparseL26coomvn_aos_segmented_loopsILj256El21rocsparse_complex_numIdES2_S2_S2_EEvlT0_NS_24const_host_device_scalarIT4_EEPKS3_PKT1_PKT2_PT3_PS3_PS5_21rocsparse_index_base_b.uses_vcc, 1
	.set _ZN9rocsparseL26coomvn_aos_segmented_loopsILj256El21rocsparse_complex_numIdES2_S2_S2_EEvlT0_NS_24const_host_device_scalarIT4_EEPKS3_PKT1_PKT2_PT3_PS3_PS5_21rocsparse_index_base_b.uses_flat_scratch, 0
	.set _ZN9rocsparseL26coomvn_aos_segmented_loopsILj256El21rocsparse_complex_numIdES2_S2_S2_EEvlT0_NS_24const_host_device_scalarIT4_EEPKS3_PKT1_PKT2_PT3_PS3_PS5_21rocsparse_index_base_b.has_dyn_sized_stack, 0
	.set _ZN9rocsparseL26coomvn_aos_segmented_loopsILj256El21rocsparse_complex_numIdES2_S2_S2_EEvlT0_NS_24const_host_device_scalarIT4_EEPKS3_PKT1_PKT2_PT3_PS3_PS5_21rocsparse_index_base_b.has_recursion, 0
	.set _ZN9rocsparseL26coomvn_aos_segmented_loopsILj256El21rocsparse_complex_numIdES2_S2_S2_EEvlT0_NS_24const_host_device_scalarIT4_EEPKS3_PKT1_PKT2_PT3_PS3_PS5_21rocsparse_index_base_b.has_indirect_call, 0
	.section	.AMDGPU.csdata,"",@progbits
; Kernel info:
; codeLenInByte = 2960
; TotalNumSgprs: 51
; NumVgprs: 38
; ScratchSize: 0
; MemoryBound: 1
; FloatMode: 240
; IeeeMode: 1
; LDSByteSize: 6144 bytes/workgroup (compile time only)
; SGPRBlocks: 6
; VGPRBlocks: 9
; NumSGPRsForWavesPerEU: 51
; NumVGPRsForWavesPerEU: 38
; Occupancy: 6
; WaveLimiterHint : 1
; COMPUTE_PGM_RSRC2:SCRATCH_EN: 0
; COMPUTE_PGM_RSRC2:USER_SGPR: 6
; COMPUTE_PGM_RSRC2:TRAP_HANDLER: 0
; COMPUTE_PGM_RSRC2:TGID_X_EN: 1
; COMPUTE_PGM_RSRC2:TGID_Y_EN: 0
; COMPUTE_PGM_RSRC2:TGID_Z_EN: 0
; COMPUTE_PGM_RSRC2:TIDIG_COMP_CNT: 0
	.section	.text._ZN9rocsparseL29coomvn_segmented_loops_reduceILj256El21rocsparse_complex_numIdES2_EEvT0_NS_24const_host_device_scalarIT2_EEPKS3_PKS5_PT1_b,"axG",@progbits,_ZN9rocsparseL29coomvn_segmented_loops_reduceILj256El21rocsparse_complex_numIdES2_EEvT0_NS_24const_host_device_scalarIT2_EEPKS3_PKS5_PT1_b,comdat
	.globl	_ZN9rocsparseL29coomvn_segmented_loops_reduceILj256El21rocsparse_complex_numIdES2_EEvT0_NS_24const_host_device_scalarIT2_EEPKS3_PKS5_PT1_b ; -- Begin function _ZN9rocsparseL29coomvn_segmented_loops_reduceILj256El21rocsparse_complex_numIdES2_EEvT0_NS_24const_host_device_scalarIT2_EEPKS3_PKS5_PT1_b
	.p2align	8
	.type	_ZN9rocsparseL29coomvn_segmented_loops_reduceILj256El21rocsparse_complex_numIdES2_EEvT0_NS_24const_host_device_scalarIT2_EEPKS3_PKS5_PT1_b,@function
_ZN9rocsparseL29coomvn_segmented_loops_reduceILj256El21rocsparse_complex_numIdES2_EEvT0_NS_24const_host_device_scalarIT2_EEPKS3_PKS5_PT1_b: ; @_ZN9rocsparseL29coomvn_segmented_loops_reduceILj256El21rocsparse_complex_numIdES2_EEvT0_NS_24const_host_device_scalarIT2_EEPKS3_PKS5_PT1_b
; %bb.0:
	s_load_dword s0, s[4:5], 0x30
	s_load_dwordx4 s[8:11], s[4:5], 0x0
	s_or_b32 s1, s4, 8
	s_waitcnt lgkmcnt(0)
	s_bitcmp1_b32 s0, 0
	s_cselect_b32 s0, s5, s11
	s_cselect_b32 s1, s1, s10
	v_mov_b32_e32 v1, s1
	v_mov_b32_e32 v2, s0
	flat_load_dwordx4 v[1:4], v[1:2]
	s_waitcnt vmcnt(0) lgkmcnt(0)
	v_cmp_neq_f64_e32 vcc, 0, v[1:2]
	v_cmp_neq_f64_e64 s[0:1], 0, v[3:4]
	s_or_b64 s[0:1], vcc, s[0:1]
	s_and_saveexec_b64 s[2:3], s[0:1]
	s_cbranch_execz .LBB31_42
; %bb.1:
	v_cmp_lt_i64_e64 s[0:1], s[8:9], 1
	s_and_b64 vcc, exec, s[0:1]
	s_cbranch_vccnz .LBB31_42
; %bb.2:
	v_subrev_co_u32_e32 v2, vcc, 1, v0
	v_mov_b32_e32 v3, 0x1000
	s_xor_b64 s[10:11], vcc, -1
	v_lshl_add_u32 v15, v2, 3, v3
	v_subrev_co_u32_e32 v2, vcc, 2, v0
	s_xor_b64 s[16:17], vcc, -1
	v_lshl_add_u32 v16, v2, 3, v3
	v_subrev_co_u32_e32 v2, vcc, 4, v0
	;; [unrolled: 3-line block ×3, first 2 shown]
	s_load_dwordx4 s[12:15], s[4:5], 0x18
	s_load_dwordx2 s[6:7], s[4:5], 0x28
	s_xor_b64 s[20:21], vcc, -1
	v_lshl_add_u32 v18, v2, 3, v3
	v_subrev_co_u32_e32 v2, vcc, 16, v0
	s_xor_b64 s[22:23], vcc, -1
	v_lshl_add_u32 v20, v2, 3, v3
	v_subrev_co_u32_e32 v2, vcc, 32, v0
	v_lshl_add_u32 v21, v2, 3, v3
	v_subrev_co_u32_e64 v2, s[0:1], 64, v0
	s_movk_i32 s2, 0x80
	v_lshlrev_b32_e32 v14, 4, v0
	v_lshl_add_u32 v22, v2, 3, v3
	v_subrev_co_u32_e64 v2, s[2:3], s2, v0
	v_lshl_add_u32 v23, v2, 3, v3
	s_waitcnt lgkmcnt(0)
	v_mov_b32_e32 v2, s15
	v_add_co_u32_e64 v3, s[4:5], s14, v14
	v_addc_co_u32_e64 v2, s[4:5], 0, v2, s[4:5]
	v_add_co_u32_e64 v9, s[4:5], 8, v3
	v_lshlrev_b32_e32 v1, 3, v0
	v_addc_co_u32_e64 v10, s[4:5], 0, v2, s[4:5]
	v_mov_b32_e32 v2, s13
	v_add_co_u32_e64 v11, s[4:5], s12, v1
	v_addc_co_u32_e64 v12, s[4:5], 0, v2, s[4:5]
	s_xor_b64 s[12:13], s[0:1], -1
	s_movk_i32 s0, 0xff
	v_or_b32_e32 v13, 0x1000, v1
	v_add_u32_e32 v19, 0xffffff80, v14
	v_add_u32_e32 v24, 0xffffff00, v14
	s_xor_b64 s[4:5], vcc, -1
	s_xor_b64 s[14:15], s[2:3], -1
	v_cmp_gt_u32_e64 s[0:1], s0, v0
	s_mov_b64 s[24:25], 0
	v_add_u32_e32 v25, 0xfffffe00, v14
	v_add_u32_e32 v26, 0xfffffc00, v14
	;; [unrolled: 1-line block ×3, first 2 shown]
	s_branch .LBB31_4
.LBB31_3:                               ;   in Loop: Header=BB31_4 Depth=1
	s_or_b64 exec, exec, s[2:3]
	s_add_u32 s24, s24, 0x100
	v_add_co_u32_e32 v9, vcc, 0x1000, v9
	v_mov_b32_e32 v1, s8
	s_addc_u32 s25, s25, 0
	v_addc_co_u32_e32 v10, vcc, 0, v10, vcc
	v_mov_b32_e32 v2, s9
	v_add_co_u32_e32 v11, vcc, 0x800, v11
	v_cmp_lt_i64_e64 s[2:3], s[24:25], v[1:2]
	v_addc_co_u32_e32 v12, vcc, 0, v12, vcc
	s_and_b64 vcc, exec, s[2:3]
	s_waitcnt vmcnt(0)
	s_barrier
	s_cbranch_vccz .LBB31_42
.LBB31_4:                               ; =>This Inner Loop Header: Depth=1
	v_mov_b32_e32 v2, s25
	v_add_co_u32_e32 v1, vcc, s24, v0
	v_addc_co_u32_e32 v2, vcc, 0, v2, vcc
	v_cmp_gt_i64_e32 vcc, s[8:9], v[1:2]
	v_mov_b32_e32 v3, 0
	v_mov_b32_e32 v1, -1
	v_mov_b32_e32 v7, 0
	v_mov_b32_e32 v5, 0
	;; [unrolled: 1-line block ×3, first 2 shown]
	v_mov_b32_e32 v2, -1
	v_mov_b32_e32 v8, 0
	v_mov_b32_e32 v6, 0
	s_and_saveexec_b64 s[2:3], vcc
	s_cbranch_execz .LBB31_6
; %bb.5:                                ;   in Loop: Header=BB31_4 Depth=1
	global_load_dwordx2 v[1:2], v[11:12], off
	global_load_dwordx4 v[5:8], v[9:10], off offset:-8
.LBB31_6:                               ;   in Loop: Header=BB31_4 Depth=1
	s_or_b64 exec, exec, s[2:3]
	s_waitcnt vmcnt(1)
	ds_write_b64 v13, v[1:2]
	s_waitcnt vmcnt(0)
	ds_write_b128 v14, v[5:8]
	v_mov_b32_e32 v1, 0
	v_mov_b32_e32 v2, 0
	s_waitcnt lgkmcnt(0)
	s_barrier
	s_and_saveexec_b64 s[2:3], s[10:11]
	s_cbranch_execz .LBB31_10
; %bb.7:                                ;   in Loop: Header=BB31_4 Depth=1
	ds_read2_b64 v[3:6], v15 offset1:1
	v_mov_b32_e32 v1, 0
	v_mov_b32_e32 v2, 0
	s_waitcnt lgkmcnt(0)
	v_cmp_eq_u64_e32 vcc, v[5:6], v[3:4]
	v_mov_b32_e32 v3, 0
	v_mov_b32_e32 v4, 0
	s_and_saveexec_b64 s[26:27], vcc
; %bb.8:                                ;   in Loop: Header=BB31_4 Depth=1
	v_add_u32_e32 v1, -16, v14
	ds_read_b128 v[1:4], v1
; %bb.9:                                ;   in Loop: Header=BB31_4 Depth=1
	s_or_b64 exec, exec, s[26:27]
.LBB31_10:                              ;   in Loop: Header=BB31_4 Depth=1
	s_or_b64 exec, exec, s[2:3]
	s_waitcnt lgkmcnt(0)
	s_barrier
	ds_read_b128 v[5:8], v14
	s_waitcnt lgkmcnt(0)
	v_add_f64 v[28:29], v[1:2], v[5:6]
	v_add_f64 v[30:31], v[3:4], v[7:8]
	v_mov_b32_e32 v3, 0
	v_mov_b32_e32 v7, 0
	;; [unrolled: 1-line block ×6, first 2 shown]
	ds_write_b128 v14, v[28:31]
	s_waitcnt lgkmcnt(0)
	s_barrier
	s_and_saveexec_b64 s[2:3], s[16:17]
	s_cbranch_execz .LBB31_14
; %bb.11:                               ;   in Loop: Header=BB31_4 Depth=1
	ds_read_b64 v[1:2], v13
	ds_read_b64 v[7:8], v16
	v_mov_b32_e32 v5, 0
	v_mov_b32_e32 v6, 0
	s_waitcnt lgkmcnt(0)
	v_cmp_eq_u64_e32 vcc, v[1:2], v[7:8]
	v_mov_b32_e32 v7, 0
	v_mov_b32_e32 v8, 0
	s_and_saveexec_b64 s[26:27], vcc
; %bb.12:                               ;   in Loop: Header=BB31_4 Depth=1
	v_subrev_u32_e32 v1, 32, v14
	ds_read_b128 v[5:8], v1
; %bb.13:                               ;   in Loop: Header=BB31_4 Depth=1
	s_or_b64 exec, exec, s[26:27]
.LBB31_14:                              ;   in Loop: Header=BB31_4 Depth=1
	s_or_b64 exec, exec, s[2:3]
	s_waitcnt lgkmcnt(0)
	s_barrier
	ds_read_b128 v[28:31], v14
	v_mov_b32_e32 v1, 0
	v_mov_b32_e32 v2, 0
	s_waitcnt lgkmcnt(0)
	v_add_f64 v[5:6], v[5:6], v[28:29]
	v_add_f64 v[7:8], v[7:8], v[30:31]
	ds_write_b128 v14, v[5:8]
	s_waitcnt lgkmcnt(0)
	s_barrier
	s_and_saveexec_b64 s[2:3], s[18:19]
	s_cbranch_execz .LBB31_18
; %bb.15:                               ;   in Loop: Header=BB31_4 Depth=1
	ds_read_b64 v[3:4], v13
	ds_read_b64 v[5:6], v17
	v_mov_b32_e32 v1, 0
	v_mov_b32_e32 v2, 0
	s_waitcnt lgkmcnt(0)
	v_cmp_eq_u64_e32 vcc, v[3:4], v[5:6]
	v_mov_b32_e32 v3, 0
	v_mov_b32_e32 v4, 0
	s_and_saveexec_b64 s[26:27], vcc
; %bb.16:                               ;   in Loop: Header=BB31_4 Depth=1
	v_subrev_u32_e32 v1, 64, v14
	ds_read_b128 v[1:4], v1
; %bb.17:                               ;   in Loop: Header=BB31_4 Depth=1
	s_or_b64 exec, exec, s[26:27]
.LBB31_18:                              ;   in Loop: Header=BB31_4 Depth=1
	s_or_b64 exec, exec, s[2:3]
	s_waitcnt lgkmcnt(0)
	s_barrier
	ds_read_b128 v[5:8], v14
	s_waitcnt lgkmcnt(0)
	v_add_f64 v[28:29], v[1:2], v[5:6]
	v_add_f64 v[30:31], v[3:4], v[7:8]
	v_mov_b32_e32 v3, 0
	v_mov_b32_e32 v7, 0
	;; [unrolled: 1-line block ×6, first 2 shown]
	ds_write_b128 v14, v[28:31]
	s_waitcnt lgkmcnt(0)
	s_barrier
	s_and_saveexec_b64 s[2:3], s[20:21]
	s_cbranch_execz .LBB31_22
; %bb.19:                               ;   in Loop: Header=BB31_4 Depth=1
	ds_read_b64 v[1:2], v13
	ds_read_b64 v[7:8], v18
	v_mov_b32_e32 v5, 0
	v_mov_b32_e32 v6, 0
	s_waitcnt lgkmcnt(0)
	v_cmp_eq_u64_e32 vcc, v[1:2], v[7:8]
	v_mov_b32_e32 v7, 0
	v_mov_b32_e32 v8, 0
	s_and_saveexec_b64 s[26:27], vcc
; %bb.20:                               ;   in Loop: Header=BB31_4 Depth=1
	ds_read_b128 v[5:8], v19
; %bb.21:                               ;   in Loop: Header=BB31_4 Depth=1
	s_or_b64 exec, exec, s[26:27]
.LBB31_22:                              ;   in Loop: Header=BB31_4 Depth=1
	s_or_b64 exec, exec, s[2:3]
	s_waitcnt lgkmcnt(0)
	s_barrier
	ds_read_b128 v[28:31], v14
	v_mov_b32_e32 v1, 0
	v_mov_b32_e32 v2, 0
	s_waitcnt lgkmcnt(0)
	v_add_f64 v[5:6], v[5:6], v[28:29]
	v_add_f64 v[7:8], v[7:8], v[30:31]
	ds_write_b128 v14, v[5:8]
	s_waitcnt lgkmcnt(0)
	s_barrier
	s_and_saveexec_b64 s[2:3], s[22:23]
	s_cbranch_execz .LBB31_26
; %bb.23:                               ;   in Loop: Header=BB31_4 Depth=1
	ds_read_b64 v[3:4], v13
	ds_read_b64 v[5:6], v20
	v_mov_b32_e32 v1, 0
	v_mov_b32_e32 v2, 0
	s_waitcnt lgkmcnt(0)
	v_cmp_eq_u64_e32 vcc, v[3:4], v[5:6]
	v_mov_b32_e32 v3, 0
	v_mov_b32_e32 v4, 0
	s_and_saveexec_b64 s[26:27], vcc
; %bb.24:                               ;   in Loop: Header=BB31_4 Depth=1
	ds_read_b128 v[1:4], v24
; %bb.25:                               ;   in Loop: Header=BB31_4 Depth=1
	s_or_b64 exec, exec, s[26:27]
.LBB31_26:                              ;   in Loop: Header=BB31_4 Depth=1
	s_or_b64 exec, exec, s[2:3]
	s_waitcnt lgkmcnt(0)
	s_barrier
	ds_read_b128 v[5:8], v14
	s_waitcnt lgkmcnt(0)
	v_add_f64 v[28:29], v[1:2], v[5:6]
	v_add_f64 v[30:31], v[3:4], v[7:8]
	v_mov_b32_e32 v3, 0
	v_mov_b32_e32 v7, 0
	;; [unrolled: 1-line block ×6, first 2 shown]
	ds_write_b128 v14, v[28:31]
	s_waitcnt lgkmcnt(0)
	s_barrier
	s_and_saveexec_b64 s[2:3], s[4:5]
	s_cbranch_execz .LBB31_30
; %bb.27:                               ;   in Loop: Header=BB31_4 Depth=1
	ds_read_b64 v[1:2], v13
	ds_read_b64 v[7:8], v21
	v_mov_b32_e32 v5, 0
	v_mov_b32_e32 v6, 0
	s_waitcnt lgkmcnt(0)
	v_cmp_eq_u64_e32 vcc, v[1:2], v[7:8]
	v_mov_b32_e32 v7, 0
	v_mov_b32_e32 v8, 0
	s_and_saveexec_b64 s[26:27], vcc
; %bb.28:                               ;   in Loop: Header=BB31_4 Depth=1
	ds_read_b128 v[5:8], v25
; %bb.29:                               ;   in Loop: Header=BB31_4 Depth=1
	s_or_b64 exec, exec, s[26:27]
.LBB31_30:                              ;   in Loop: Header=BB31_4 Depth=1
	s_or_b64 exec, exec, s[2:3]
	s_waitcnt lgkmcnt(0)
	s_barrier
	ds_read_b128 v[28:31], v14
	v_mov_b32_e32 v1, 0
	v_mov_b32_e32 v2, 0
	s_waitcnt lgkmcnt(0)
	v_add_f64 v[5:6], v[5:6], v[28:29]
	v_add_f64 v[7:8], v[7:8], v[30:31]
	ds_write_b128 v14, v[5:8]
	s_waitcnt lgkmcnt(0)
	s_barrier
	s_and_saveexec_b64 s[2:3], s[12:13]
	s_cbranch_execz .LBB31_34
; %bb.31:                               ;   in Loop: Header=BB31_4 Depth=1
	ds_read_b64 v[3:4], v13
	ds_read_b64 v[5:6], v22
	v_mov_b32_e32 v1, 0
	v_mov_b32_e32 v2, 0
	s_waitcnt lgkmcnt(0)
	v_cmp_eq_u64_e32 vcc, v[3:4], v[5:6]
	v_mov_b32_e32 v3, 0
	v_mov_b32_e32 v4, 0
	s_and_saveexec_b64 s[26:27], vcc
; %bb.32:                               ;   in Loop: Header=BB31_4 Depth=1
	ds_read_b128 v[1:4], v26
; %bb.33:                               ;   in Loop: Header=BB31_4 Depth=1
	s_or_b64 exec, exec, s[26:27]
.LBB31_34:                              ;   in Loop: Header=BB31_4 Depth=1
	s_or_b64 exec, exec, s[2:3]
	s_waitcnt lgkmcnt(0)
	s_barrier
	ds_read_b128 v[5:8], v14
	s_waitcnt lgkmcnt(0)
	v_add_f64 v[5:6], v[1:2], v[5:6]
	v_add_f64 v[7:8], v[3:4], v[7:8]
	v_mov_b32_e32 v3, 0
	v_mov_b32_e32 v1, 0
	;; [unrolled: 1-line block ×4, first 2 shown]
	ds_write_b128 v14, v[5:8]
	s_waitcnt lgkmcnt(0)
	s_barrier
	s_and_saveexec_b64 s[2:3], s[14:15]
	s_cbranch_execz .LBB31_38
; %bb.35:                               ;   in Loop: Header=BB31_4 Depth=1
	ds_read_b64 v[3:4], v13
	ds_read_b64 v[5:6], v23
	v_mov_b32_e32 v1, 0
	v_mov_b32_e32 v2, 0
	s_waitcnt lgkmcnt(0)
	v_cmp_eq_u64_e32 vcc, v[3:4], v[5:6]
	v_mov_b32_e32 v3, 0
	v_mov_b32_e32 v4, 0
	s_and_saveexec_b64 s[26:27], vcc
; %bb.36:                               ;   in Loop: Header=BB31_4 Depth=1
	ds_read_b128 v[1:4], v27
; %bb.37:                               ;   in Loop: Header=BB31_4 Depth=1
	s_or_b64 exec, exec, s[26:27]
.LBB31_38:                              ;   in Loop: Header=BB31_4 Depth=1
	s_or_b64 exec, exec, s[2:3]
	s_waitcnt lgkmcnt(0)
	s_barrier
	ds_read_b128 v[5:8], v14
	s_waitcnt lgkmcnt(0)
	v_add_f64 v[1:2], v[1:2], v[5:6]
	v_add_f64 v[3:4], v[3:4], v[7:8]
	ds_write_b128 v14, v[1:4]
	s_waitcnt lgkmcnt(0)
	s_barrier
	ds_read_b64 v[1:2], v13
	v_mov_b32_e32 v3, -1
	v_mov_b32_e32 v4, -1
	s_and_saveexec_b64 s[2:3], s[0:1]
; %bb.39:                               ;   in Loop: Header=BB31_4 Depth=1
	ds_read_b64 v[3:4], v13 offset:8
; %bb.40:                               ;   in Loop: Header=BB31_4 Depth=1
	s_or_b64 exec, exec, s[2:3]
	s_waitcnt lgkmcnt(0)
	v_cmp_ne_u64_e32 vcc, v[1:2], v[3:4]
	v_cmp_lt_i64_e64 s[2:3], -1, v[1:2]
	s_and_b64 s[26:27], s[2:3], vcc
	s_and_saveexec_b64 s[2:3], s[26:27]
	s_cbranch_execz .LBB31_3
; %bb.41:                               ;   in Loop: Header=BB31_4 Depth=1
	v_lshlrev_b64 v[1:2], 4, v[1:2]
	v_mov_b32_e32 v3, s7
	v_add_co_u32_e32 v28, vcc, s6, v1
	v_addc_co_u32_e32 v29, vcc, v3, v2, vcc
	global_load_dwordx4 v[1:4], v[28:29], off
	ds_read_b128 v[5:8], v14
	s_waitcnt vmcnt(0) lgkmcnt(0)
	v_add_f64 v[1:2], v[5:6], v[1:2]
	v_add_f64 v[3:4], v[7:8], v[3:4]
	global_store_dwordx4 v[28:29], v[1:4], off
	s_branch .LBB31_3
.LBB31_42:
	s_endpgm
	.section	.rodata,"a",@progbits
	.p2align	6, 0x0
	.amdhsa_kernel _ZN9rocsparseL29coomvn_segmented_loops_reduceILj256El21rocsparse_complex_numIdES2_EEvT0_NS_24const_host_device_scalarIT2_EEPKS3_PKS5_PT1_b
		.amdhsa_group_segment_fixed_size 6144
		.amdhsa_private_segment_fixed_size 0
		.amdhsa_kernarg_size 52
		.amdhsa_user_sgpr_count 6
		.amdhsa_user_sgpr_private_segment_buffer 1
		.amdhsa_user_sgpr_dispatch_ptr 0
		.amdhsa_user_sgpr_queue_ptr 0
		.amdhsa_user_sgpr_kernarg_segment_ptr 1
		.amdhsa_user_sgpr_dispatch_id 0
		.amdhsa_user_sgpr_flat_scratch_init 0
		.amdhsa_user_sgpr_private_segment_size 0
		.amdhsa_uses_dynamic_stack 0
		.amdhsa_system_sgpr_private_segment_wavefront_offset 0
		.amdhsa_system_sgpr_workgroup_id_x 1
		.amdhsa_system_sgpr_workgroup_id_y 0
		.amdhsa_system_sgpr_workgroup_id_z 0
		.amdhsa_system_sgpr_workgroup_info 0
		.amdhsa_system_vgpr_workitem_id 0
		.amdhsa_next_free_vgpr 32
		.amdhsa_next_free_sgpr 28
		.amdhsa_reserve_vcc 1
		.amdhsa_reserve_flat_scratch 0
		.amdhsa_float_round_mode_32 0
		.amdhsa_float_round_mode_16_64 0
		.amdhsa_float_denorm_mode_32 3
		.amdhsa_float_denorm_mode_16_64 3
		.amdhsa_dx10_clamp 1
		.amdhsa_ieee_mode 1
		.amdhsa_fp16_overflow 0
		.amdhsa_exception_fp_ieee_invalid_op 0
		.amdhsa_exception_fp_denorm_src 0
		.amdhsa_exception_fp_ieee_div_zero 0
		.amdhsa_exception_fp_ieee_overflow 0
		.amdhsa_exception_fp_ieee_underflow 0
		.amdhsa_exception_fp_ieee_inexact 0
		.amdhsa_exception_int_div_zero 0
	.end_amdhsa_kernel
	.section	.text._ZN9rocsparseL29coomvn_segmented_loops_reduceILj256El21rocsparse_complex_numIdES2_EEvT0_NS_24const_host_device_scalarIT2_EEPKS3_PKS5_PT1_b,"axG",@progbits,_ZN9rocsparseL29coomvn_segmented_loops_reduceILj256El21rocsparse_complex_numIdES2_EEvT0_NS_24const_host_device_scalarIT2_EEPKS3_PKS5_PT1_b,comdat
.Lfunc_end31:
	.size	_ZN9rocsparseL29coomvn_segmented_loops_reduceILj256El21rocsparse_complex_numIdES2_EEvT0_NS_24const_host_device_scalarIT2_EEPKS3_PKS5_PT1_b, .Lfunc_end31-_ZN9rocsparseL29coomvn_segmented_loops_reduceILj256El21rocsparse_complex_numIdES2_EEvT0_NS_24const_host_device_scalarIT2_EEPKS3_PKS5_PT1_b
                                        ; -- End function
	.set _ZN9rocsparseL29coomvn_segmented_loops_reduceILj256El21rocsparse_complex_numIdES2_EEvT0_NS_24const_host_device_scalarIT2_EEPKS3_PKS5_PT1_b.num_vgpr, 32
	.set _ZN9rocsparseL29coomvn_segmented_loops_reduceILj256El21rocsparse_complex_numIdES2_EEvT0_NS_24const_host_device_scalarIT2_EEPKS3_PKS5_PT1_b.num_agpr, 0
	.set _ZN9rocsparseL29coomvn_segmented_loops_reduceILj256El21rocsparse_complex_numIdES2_EEvT0_NS_24const_host_device_scalarIT2_EEPKS3_PKS5_PT1_b.numbered_sgpr, 28
	.set _ZN9rocsparseL29coomvn_segmented_loops_reduceILj256El21rocsparse_complex_numIdES2_EEvT0_NS_24const_host_device_scalarIT2_EEPKS3_PKS5_PT1_b.num_named_barrier, 0
	.set _ZN9rocsparseL29coomvn_segmented_loops_reduceILj256El21rocsparse_complex_numIdES2_EEvT0_NS_24const_host_device_scalarIT2_EEPKS3_PKS5_PT1_b.private_seg_size, 0
	.set _ZN9rocsparseL29coomvn_segmented_loops_reduceILj256El21rocsparse_complex_numIdES2_EEvT0_NS_24const_host_device_scalarIT2_EEPKS3_PKS5_PT1_b.uses_vcc, 1
	.set _ZN9rocsparseL29coomvn_segmented_loops_reduceILj256El21rocsparse_complex_numIdES2_EEvT0_NS_24const_host_device_scalarIT2_EEPKS3_PKS5_PT1_b.uses_flat_scratch, 0
	.set _ZN9rocsparseL29coomvn_segmented_loops_reduceILj256El21rocsparse_complex_numIdES2_EEvT0_NS_24const_host_device_scalarIT2_EEPKS3_PKS5_PT1_b.has_dyn_sized_stack, 0
	.set _ZN9rocsparseL29coomvn_segmented_loops_reduceILj256El21rocsparse_complex_numIdES2_EEvT0_NS_24const_host_device_scalarIT2_EEPKS3_PKS5_PT1_b.has_recursion, 0
	.set _ZN9rocsparseL29coomvn_segmented_loops_reduceILj256El21rocsparse_complex_numIdES2_EEvT0_NS_24const_host_device_scalarIT2_EEPKS3_PKS5_PT1_b.has_indirect_call, 0
	.section	.AMDGPU.csdata,"",@progbits
; Kernel info:
; codeLenInByte = 1792
; TotalNumSgprs: 32
; NumVgprs: 32
; ScratchSize: 0
; MemoryBound: 1
; FloatMode: 240
; IeeeMode: 1
; LDSByteSize: 6144 bytes/workgroup (compile time only)
; SGPRBlocks: 3
; VGPRBlocks: 7
; NumSGPRsForWavesPerEU: 32
; NumVGPRsForWavesPerEU: 32
; Occupancy: 8
; WaveLimiterHint : 0
; COMPUTE_PGM_RSRC2:SCRATCH_EN: 0
; COMPUTE_PGM_RSRC2:USER_SGPR: 6
; COMPUTE_PGM_RSRC2:TRAP_HANDLER: 0
; COMPUTE_PGM_RSRC2:TGID_X_EN: 1
; COMPUTE_PGM_RSRC2:TGID_Y_EN: 0
; COMPUTE_PGM_RSRC2:TGID_Z_EN: 0
; COMPUTE_PGM_RSRC2:TIDIG_COMP_CNT: 0
	.section	.text._ZN9rocsparseL23coomvn_aos_atomic_loopsILj256ELj1EiaaiiEEvlNS_24const_host_device_scalarIT5_EEPKT1_PKT2_PKT3_PT4_21rocsparse_index_base_b,"axG",@progbits,_ZN9rocsparseL23coomvn_aos_atomic_loopsILj256ELj1EiaaiiEEvlNS_24const_host_device_scalarIT5_EEPKT1_PKT2_PKT3_PT4_21rocsparse_index_base_b,comdat
	.globl	_ZN9rocsparseL23coomvn_aos_atomic_loopsILj256ELj1EiaaiiEEvlNS_24const_host_device_scalarIT5_EEPKT1_PKT2_PKT3_PT4_21rocsparse_index_base_b ; -- Begin function _ZN9rocsparseL23coomvn_aos_atomic_loopsILj256ELj1EiaaiiEEvlNS_24const_host_device_scalarIT5_EEPKT1_PKT2_PKT3_PT4_21rocsparse_index_base_b
	.p2align	8
	.type	_ZN9rocsparseL23coomvn_aos_atomic_loopsILj256ELj1EiaaiiEEvlNS_24const_host_device_scalarIT5_EEPKT1_PKT2_PKT3_PT4_21rocsparse_index_base_b,@function
_ZN9rocsparseL23coomvn_aos_atomic_loopsILj256ELj1EiaaiiEEvlNS_24const_host_device_scalarIT5_EEPKT1_PKT2_PKT3_PT4_21rocsparse_index_base_b: ; @_ZN9rocsparseL23coomvn_aos_atomic_loopsILj256ELj1EiaaiiEEvlNS_24const_host_device_scalarIT5_EEPKT1_PKT2_PKT3_PT4_21rocsparse_index_base_b
; %bb.0:
	s_load_dwordx2 s[8:9], s[4:5], 0x30
	s_load_dwordx4 s[0:3], s[4:5], 0x0
	s_waitcnt lgkmcnt(0)
	s_bitcmp0_b32 s9, 0
	s_cbranch_scc0 .LBB32_2
; %bb.1:
	s_load_dword s7, s[2:3], 0x0
	s_cbranch_execz .LBB32_3
	s_branch .LBB32_4
.LBB32_2:
                                        ; implicit-def: $sgpr7
.LBB32_3:
	s_waitcnt lgkmcnt(0)
	s_mov_b32 s7, s2
.LBB32_4:
	s_waitcnt lgkmcnt(0)
	s_cmp_eq_u32 s7, 0
	s_cbranch_scc1 .LBB32_44
; %bb.5:
	v_lshl_or_b32 v1, s6, 8, v0
	v_mov_b32_e32 v2, 0
	v_cmp_gt_i64_e32 vcc, s[0:1], v[1:2]
	v_mov_b32_e32 v3, -1
	s_and_saveexec_b64 s[0:1], vcc
	s_cbranch_execz .LBB32_7
; %bb.6:
	s_load_dwordx4 s[12:15], s[4:5], 0x10
	s_load_dwordx2 s[2:3], s[4:5], 0x20
	v_lshlrev_b64 v[2:3], 3, v[1:2]
	s_waitcnt lgkmcnt(0)
	v_mov_b32_e32 v4, s13
	v_add_co_u32_e32 v2, vcc, s12, v2
	v_addc_co_u32_e32 v3, vcc, v4, v3, vcc
	global_load_dwordx2 v[2:3], v[2:3], off glc slc
	v_mov_b32_e32 v5, s15
	v_add_co_u32_e32 v4, vcc, s14, v1
	v_addc_co_u32_e32 v5, vcc, 0, v5, vcc
	v_mov_b32_e32 v6, s3
	global_load_sbyte v1, v[4:5], off glc slc
	s_waitcnt vmcnt(1)
	v_subrev_u32_e32 v3, s8, v3
	v_ashrrev_i32_e32 v4, 31, v3
	v_add_co_u32_e32 v3, vcc, s2, v3
	v_addc_co_u32_e32 v4, vcc, v6, v4, vcc
	global_load_sbyte v4, v[3:4], off
	v_subrev_u32_e32 v3, s8, v2
	s_waitcnt vmcnt(0)
	v_mul_i32_i24_e32 v2, v4, v1
.LBB32_7:
	s_or_b64 exec, exec, s[0:1]
	v_lshlrev_b32_e32 v1, 2, v0
	v_or_b32_e32 v4, 0x400, v1
	v_cmp_ne_u32_e32 vcc, 0, v0
	ds_write2st64_b32 v1, v3, v2 offset1:4
	s_waitcnt lgkmcnt(0)
	s_barrier
	s_and_saveexec_b64 s[0:1], vcc
	s_cbranch_execz .LBB32_11
; %bb.8:
	v_add_u32_e32 v5, -4, v1
	ds_read_b32 v5, v5
	s_waitcnt lgkmcnt(0)
	v_cmp_eq_u32_e32 vcc, v3, v5
	s_and_saveexec_b64 s[2:3], vcc
	s_cbranch_execz .LBB32_10
; %bb.9:
	v_add_u32_e32 v5, -4, v4
	ds_read_b32 v5, v5
	s_waitcnt lgkmcnt(0)
	v_add_u32_e32 v2, v5, v2
.LBB32_10:
	s_or_b64 exec, exec, s[2:3]
.LBB32_11:
	s_or_b64 exec, exec, s[0:1]
	v_cmp_lt_u32_e32 vcc, 1, v0
	s_barrier
	ds_write_b32 v4, v2
	s_waitcnt lgkmcnt(0)
	s_barrier
	s_and_saveexec_b64 s[0:1], vcc
	s_cbranch_execz .LBB32_15
; %bb.12:
	v_add_u32_e32 v5, -8, v1
	ds_read_b32 v5, v5
	s_waitcnt lgkmcnt(0)
	v_cmp_eq_u32_e32 vcc, v3, v5
	s_and_saveexec_b64 s[2:3], vcc
	s_cbranch_execz .LBB32_14
; %bb.13:
	v_add_u32_e32 v5, -8, v4
	ds_read_b32 v5, v5
	s_waitcnt lgkmcnt(0)
	v_add_u32_e32 v2, v5, v2
.LBB32_14:
	s_or_b64 exec, exec, s[2:3]
.LBB32_15:
	s_or_b64 exec, exec, s[0:1]
	v_cmp_lt_u32_e32 vcc, 3, v0
	s_barrier
	ds_write_b32 v4, v2
	;; [unrolled: 23-line block ×3, first 2 shown]
	s_waitcnt lgkmcnt(0)
	s_barrier
	s_and_saveexec_b64 s[0:1], vcc
	s_cbranch_execz .LBB32_23
; %bb.20:
	v_subrev_u32_e32 v5, 32, v1
	ds_read_b32 v5, v5
	s_waitcnt lgkmcnt(0)
	v_cmp_eq_u32_e32 vcc, v3, v5
	s_and_saveexec_b64 s[2:3], vcc
	s_cbranch_execz .LBB32_22
; %bb.21:
	v_subrev_u32_e32 v5, 32, v4
	ds_read_b32 v5, v5
	s_waitcnt lgkmcnt(0)
	v_add_u32_e32 v2, v5, v2
.LBB32_22:
	s_or_b64 exec, exec, s[2:3]
.LBB32_23:
	s_or_b64 exec, exec, s[0:1]
	v_cmp_lt_u32_e32 vcc, 15, v0
	s_barrier
	ds_write_b32 v4, v2
	s_waitcnt lgkmcnt(0)
	s_barrier
	s_and_saveexec_b64 s[0:1], vcc
	s_cbranch_execz .LBB32_27
; %bb.24:
	v_subrev_u32_e32 v5, 64, v1
	ds_read_b32 v5, v5
	s_waitcnt lgkmcnt(0)
	v_cmp_eq_u32_e32 vcc, v3, v5
	s_and_saveexec_b64 s[2:3], vcc
	s_cbranch_execz .LBB32_26
; %bb.25:
	v_subrev_u32_e32 v5, 64, v4
	ds_read_b32 v5, v5
	s_waitcnt lgkmcnt(0)
	v_add_u32_e32 v2, v5, v2
.LBB32_26:
	s_or_b64 exec, exec, s[2:3]
.LBB32_27:
	s_or_b64 exec, exec, s[0:1]
	v_cmp_lt_u32_e32 vcc, 31, v0
	s_barrier
	ds_write_b32 v4, v2
	s_waitcnt lgkmcnt(0)
	s_barrier
	s_and_saveexec_b64 s[0:1], vcc
	s_cbranch_execz .LBB32_31
; %bb.28:
	v_add_u32_e32 v5, 0xffffff80, v1
	ds_read_b32 v5, v5
	s_waitcnt lgkmcnt(0)
	v_cmp_eq_u32_e32 vcc, v3, v5
	s_and_saveexec_b64 s[2:3], vcc
	s_cbranch_execz .LBB32_30
; %bb.29:
	v_add_u32_e32 v5, 0xffffff80, v4
	ds_read_b32 v5, v5
	s_waitcnt lgkmcnt(0)
	v_add_u32_e32 v2, v5, v2
.LBB32_30:
	s_or_b64 exec, exec, s[2:3]
.LBB32_31:
	s_or_b64 exec, exec, s[0:1]
	v_cmp_lt_u32_e32 vcc, 63, v0
	s_barrier
	ds_write_b32 v4, v2
	s_waitcnt lgkmcnt(0)
	s_barrier
	s_and_saveexec_b64 s[0:1], vcc
	s_cbranch_execz .LBB32_35
; %bb.32:
	v_add_u32_e32 v5, 0xffffff00, v1
	ds_read_b32 v5, v5
	s_waitcnt lgkmcnt(0)
	v_cmp_eq_u32_e32 vcc, v3, v5
	s_and_saveexec_b64 s[2:3], vcc
	s_cbranch_execz .LBB32_34
; %bb.33:
	v_add_u32_e32 v5, 0xffffff00, v4
	ds_read_b32 v5, v5
	s_waitcnt lgkmcnt(0)
	v_add_u32_e32 v2, v5, v2
.LBB32_34:
	s_or_b64 exec, exec, s[2:3]
.LBB32_35:
	s_or_b64 exec, exec, s[0:1]
	s_load_dwordx2 s[2:3], s[4:5], 0x28
	s_movk_i32 s0, 0x7f
	v_cmp_lt_u32_e32 vcc, s0, v0
	s_waitcnt lgkmcnt(0)
	s_barrier
	ds_write_b32 v4, v2
	s_waitcnt lgkmcnt(0)
	s_barrier
	s_and_saveexec_b64 s[0:1], vcc
	s_cbranch_execz .LBB32_39
; %bb.36:
	v_add_u32_e32 v5, 0xfffffe00, v1
	ds_read_b32 v5, v5
	s_waitcnt lgkmcnt(0)
	v_cmp_eq_u32_e32 vcc, v3, v5
	s_and_saveexec_b64 s[4:5], vcc
	s_cbranch_execz .LBB32_38
; %bb.37:
	v_add_u32_e32 v5, 0xfffffe00, v4
	ds_read_b32 v5, v5
	s_waitcnt lgkmcnt(0)
	v_add_u32_e32 v2, v5, v2
.LBB32_38:
	s_or_b64 exec, exec, s[4:5]
.LBB32_39:
	s_or_b64 exec, exec, s[0:1]
	s_movk_i32 s6, 0xff
	v_cmp_gt_u32_e32 vcc, s6, v0
	s_barrier
	ds_write_b32 v4, v2
	s_waitcnt lgkmcnt(0)
	s_barrier
	s_and_saveexec_b64 s[4:5], vcc
	s_cbranch_execz .LBB32_42
; %bb.40:
	ds_read_b32 v1, v1 offset:4
	v_cmp_lt_i32_e64 s[0:1], -1, v3
	s_waitcnt lgkmcnt(0)
	v_cmp_ne_u32_e32 vcc, v3, v1
	s_and_b64 s[0:1], s[0:1], vcc
	s_and_b64 exec, exec, s[0:1]
	s_cbranch_execz .LBB32_42
; %bb.41:
	v_mov_b32_e32 v4, 0
	v_lshlrev_b64 v[4:5], 2, v[3:4]
	v_mul_lo_u32 v6, v2, s7
	v_mov_b32_e32 v1, s3
	v_add_co_u32_e32 v4, vcc, s2, v4
	v_addc_co_u32_e32 v5, vcc, v1, v5, vcc
	global_atomic_add v[4:5], v6, off
.LBB32_42:
	s_or_b64 exec, exec, s[4:5]
	v_cmp_eq_u32_e32 vcc, s6, v0
	v_cmp_lt_i32_e64 s[0:1], -1, v3
	s_and_b64 s[0:1], vcc, s[0:1]
	s_and_saveexec_b64 s[4:5], s[0:1]
	s_cbranch_execz .LBB32_44
; %bb.43:
	v_mov_b32_e32 v4, 0
	v_lshlrev_b64 v[0:1], 2, v[3:4]
	v_mul_lo_u32 v2, v2, s7
	v_mov_b32_e32 v3, s3
	v_add_co_u32_e32 v0, vcc, s2, v0
	v_addc_co_u32_e32 v1, vcc, v3, v1, vcc
	global_atomic_add v[0:1], v2, off
.LBB32_44:
	s_endpgm
	.section	.rodata,"a",@progbits
	.p2align	6, 0x0
	.amdhsa_kernel _ZN9rocsparseL23coomvn_aos_atomic_loopsILj256ELj1EiaaiiEEvlNS_24const_host_device_scalarIT5_EEPKT1_PKT2_PKT3_PT4_21rocsparse_index_base_b
		.amdhsa_group_segment_fixed_size 2048
		.amdhsa_private_segment_fixed_size 0
		.amdhsa_kernarg_size 56
		.amdhsa_user_sgpr_count 6
		.amdhsa_user_sgpr_private_segment_buffer 1
		.amdhsa_user_sgpr_dispatch_ptr 0
		.amdhsa_user_sgpr_queue_ptr 0
		.amdhsa_user_sgpr_kernarg_segment_ptr 1
		.amdhsa_user_sgpr_dispatch_id 0
		.amdhsa_user_sgpr_flat_scratch_init 0
		.amdhsa_user_sgpr_private_segment_size 0
		.amdhsa_uses_dynamic_stack 0
		.amdhsa_system_sgpr_private_segment_wavefront_offset 0
		.amdhsa_system_sgpr_workgroup_id_x 1
		.amdhsa_system_sgpr_workgroup_id_y 0
		.amdhsa_system_sgpr_workgroup_id_z 0
		.amdhsa_system_sgpr_workgroup_info 0
		.amdhsa_system_vgpr_workitem_id 0
		.amdhsa_next_free_vgpr 7
		.amdhsa_next_free_sgpr 16
		.amdhsa_reserve_vcc 1
		.amdhsa_reserve_flat_scratch 0
		.amdhsa_float_round_mode_32 0
		.amdhsa_float_round_mode_16_64 0
		.amdhsa_float_denorm_mode_32 3
		.amdhsa_float_denorm_mode_16_64 3
		.amdhsa_dx10_clamp 1
		.amdhsa_ieee_mode 1
		.amdhsa_fp16_overflow 0
		.amdhsa_exception_fp_ieee_invalid_op 0
		.amdhsa_exception_fp_denorm_src 0
		.amdhsa_exception_fp_ieee_div_zero 0
		.amdhsa_exception_fp_ieee_overflow 0
		.amdhsa_exception_fp_ieee_underflow 0
		.amdhsa_exception_fp_ieee_inexact 0
		.amdhsa_exception_int_div_zero 0
	.end_amdhsa_kernel
	.section	.text._ZN9rocsparseL23coomvn_aos_atomic_loopsILj256ELj1EiaaiiEEvlNS_24const_host_device_scalarIT5_EEPKT1_PKT2_PKT3_PT4_21rocsparse_index_base_b,"axG",@progbits,_ZN9rocsparseL23coomvn_aos_atomic_loopsILj256ELj1EiaaiiEEvlNS_24const_host_device_scalarIT5_EEPKT1_PKT2_PKT3_PT4_21rocsparse_index_base_b,comdat
.Lfunc_end32:
	.size	_ZN9rocsparseL23coomvn_aos_atomic_loopsILj256ELj1EiaaiiEEvlNS_24const_host_device_scalarIT5_EEPKT1_PKT2_PKT3_PT4_21rocsparse_index_base_b, .Lfunc_end32-_ZN9rocsparseL23coomvn_aos_atomic_loopsILj256ELj1EiaaiiEEvlNS_24const_host_device_scalarIT5_EEPKT1_PKT2_PKT3_PT4_21rocsparse_index_base_b
                                        ; -- End function
	.set _ZN9rocsparseL23coomvn_aos_atomic_loopsILj256ELj1EiaaiiEEvlNS_24const_host_device_scalarIT5_EEPKT1_PKT2_PKT3_PT4_21rocsparse_index_base_b.num_vgpr, 7
	.set _ZN9rocsparseL23coomvn_aos_atomic_loopsILj256ELj1EiaaiiEEvlNS_24const_host_device_scalarIT5_EEPKT1_PKT2_PKT3_PT4_21rocsparse_index_base_b.num_agpr, 0
	.set _ZN9rocsparseL23coomvn_aos_atomic_loopsILj256ELj1EiaaiiEEvlNS_24const_host_device_scalarIT5_EEPKT1_PKT2_PKT3_PT4_21rocsparse_index_base_b.numbered_sgpr, 16
	.set _ZN9rocsparseL23coomvn_aos_atomic_loopsILj256ELj1EiaaiiEEvlNS_24const_host_device_scalarIT5_EEPKT1_PKT2_PKT3_PT4_21rocsparse_index_base_b.num_named_barrier, 0
	.set _ZN9rocsparseL23coomvn_aos_atomic_loopsILj256ELj1EiaaiiEEvlNS_24const_host_device_scalarIT5_EEPKT1_PKT2_PKT3_PT4_21rocsparse_index_base_b.private_seg_size, 0
	.set _ZN9rocsparseL23coomvn_aos_atomic_loopsILj256ELj1EiaaiiEEvlNS_24const_host_device_scalarIT5_EEPKT1_PKT2_PKT3_PT4_21rocsparse_index_base_b.uses_vcc, 1
	.set _ZN9rocsparseL23coomvn_aos_atomic_loopsILj256ELj1EiaaiiEEvlNS_24const_host_device_scalarIT5_EEPKT1_PKT2_PKT3_PT4_21rocsparse_index_base_b.uses_flat_scratch, 0
	.set _ZN9rocsparseL23coomvn_aos_atomic_loopsILj256ELj1EiaaiiEEvlNS_24const_host_device_scalarIT5_EEPKT1_PKT2_PKT3_PT4_21rocsparse_index_base_b.has_dyn_sized_stack, 0
	.set _ZN9rocsparseL23coomvn_aos_atomic_loopsILj256ELj1EiaaiiEEvlNS_24const_host_device_scalarIT5_EEPKT1_PKT2_PKT3_PT4_21rocsparse_index_base_b.has_recursion, 0
	.set _ZN9rocsparseL23coomvn_aos_atomic_loopsILj256ELj1EiaaiiEEvlNS_24const_host_device_scalarIT5_EEPKT1_PKT2_PKT3_PT4_21rocsparse_index_base_b.has_indirect_call, 0
	.section	.AMDGPU.csdata,"",@progbits
; Kernel info:
; codeLenInByte = 1144
; TotalNumSgprs: 20
; NumVgprs: 7
; ScratchSize: 0
; MemoryBound: 0
; FloatMode: 240
; IeeeMode: 1
; LDSByteSize: 2048 bytes/workgroup (compile time only)
; SGPRBlocks: 2
; VGPRBlocks: 1
; NumSGPRsForWavesPerEU: 20
; NumVGPRsForWavesPerEU: 7
; Occupancy: 10
; WaveLimiterHint : 1
; COMPUTE_PGM_RSRC2:SCRATCH_EN: 0
; COMPUTE_PGM_RSRC2:USER_SGPR: 6
; COMPUTE_PGM_RSRC2:TRAP_HANDLER: 0
; COMPUTE_PGM_RSRC2:TGID_X_EN: 1
; COMPUTE_PGM_RSRC2:TGID_Y_EN: 0
; COMPUTE_PGM_RSRC2:TGID_Z_EN: 0
; COMPUTE_PGM_RSRC2:TIDIG_COMP_CNT: 0
	.section	.text._ZN9rocsparseL17coomvt_aos_kernelILj1024EiaaiiEEv20rocsparse_operation_lNS_24const_host_device_scalarIT4_EEPKT0_PKT1_PKT2_PT3_21rocsparse_index_base_b,"axG",@progbits,_ZN9rocsparseL17coomvt_aos_kernelILj1024EiaaiiEEv20rocsparse_operation_lNS_24const_host_device_scalarIT4_EEPKT0_PKT1_PKT2_PT3_21rocsparse_index_base_b,comdat
	.globl	_ZN9rocsparseL17coomvt_aos_kernelILj1024EiaaiiEEv20rocsparse_operation_lNS_24const_host_device_scalarIT4_EEPKT0_PKT1_PKT2_PT3_21rocsparse_index_base_b ; -- Begin function _ZN9rocsparseL17coomvt_aos_kernelILj1024EiaaiiEEv20rocsparse_operation_lNS_24const_host_device_scalarIT4_EEPKT0_PKT1_PKT2_PT3_21rocsparse_index_base_b
	.p2align	8
	.type	_ZN9rocsparseL17coomvt_aos_kernelILj1024EiaaiiEEv20rocsparse_operation_lNS_24const_host_device_scalarIT4_EEPKT0_PKT1_PKT2_PT3_21rocsparse_index_base_b,@function
_ZN9rocsparseL17coomvt_aos_kernelILj1024EiaaiiEEv20rocsparse_operation_lNS_24const_host_device_scalarIT4_EEPKT0_PKT1_PKT2_PT3_21rocsparse_index_base_b: ; @_ZN9rocsparseL17coomvt_aos_kernelILj1024EiaaiiEEv20rocsparse_operation_lNS_24const_host_device_scalarIT4_EEPKT0_PKT1_PKT2_PT3_21rocsparse_index_base_b
; %bb.0:
	s_load_dwordx2 s[16:17], s[4:5], 0x38
	s_load_dwordx4 s[0:3], s[4:5], 0x8
	s_waitcnt lgkmcnt(0)
	s_bitcmp0_b32 s17, 0
	s_cbranch_scc0 .LBB33_2
; %bb.1:
	s_load_dword s3, s[2:3], 0x0
	s_cbranch_execz .LBB33_3
	s_branch .LBB33_4
.LBB33_2:
                                        ; implicit-def: $sgpr3
.LBB33_3:
	s_waitcnt lgkmcnt(0)
	s_mov_b32 s3, s2
.LBB33_4:
	s_waitcnt lgkmcnt(0)
	s_cmp_eq_u32 s3, 0
	s_cbranch_scc1 .LBB33_7
; %bb.5:
	s_load_dword s2, s[4:5], 0x4c
	v_mov_b32_e32 v1, 0
	s_waitcnt lgkmcnt(0)
	s_and_b32 s2, s2, 0xffff
	s_mul_i32 s6, s6, s2
	v_add_u32_e32 v0, s6, v0
	v_cmp_gt_i64_e32 vcc, s[0:1], v[0:1]
	s_and_saveexec_b64 s[0:1], vcc
	s_cbranch_execz .LBB33_7
; %bb.6:
	s_load_dwordx8 s[8:15], s[4:5], 0x18
	v_lshlrev_b64 v[1:2], 3, v[0:1]
	s_waitcnt lgkmcnt(0)
	v_mov_b32_e32 v3, s9
	v_add_co_u32_e32 v1, vcc, s8, v1
	v_addc_co_u32_e32 v2, vcc, v3, v2, vcc
	global_load_dwordx2 v[1:2], v[1:2], off
	v_mov_b32_e32 v4, s11
	v_add_co_u32_e32 v3, vcc, s10, v0
	v_addc_co_u32_e32 v4, vcc, 0, v4, vcc
	global_load_sbyte v3, v[3:4], off
	v_mov_b32_e32 v5, s13
	s_waitcnt vmcnt(1)
	v_subrev_u32_e32 v0, s16, v1
	v_ashrrev_i32_e32 v1, 31, v0
	v_add_co_u32_e32 v0, vcc, s12, v0
	v_addc_co_u32_e32 v1, vcc, v5, v1, vcc
	global_load_sbyte v4, v[0:1], off
	s_waitcnt vmcnt(1)
	v_mul_lo_u32 v3, s3, v3
	v_subrev_u32_e32 v0, s16, v2
	v_ashrrev_i32_e32 v1, 31, v0
	v_lshlrev_b64 v[0:1], 2, v[0:1]
	v_mov_b32_e32 v5, s15
	v_add_co_u32_e32 v0, vcc, s14, v0
	v_addc_co_u32_e32 v1, vcc, v5, v1, vcc
	s_waitcnt vmcnt(0)
	v_mul_lo_u32 v2, v3, v4
	global_atomic_add v[0:1], v2, off
.LBB33_7:
	s_endpgm
	.section	.rodata,"a",@progbits
	.p2align	6, 0x0
	.amdhsa_kernel _ZN9rocsparseL17coomvt_aos_kernelILj1024EiaaiiEEv20rocsparse_operation_lNS_24const_host_device_scalarIT4_EEPKT0_PKT1_PKT2_PT3_21rocsparse_index_base_b
		.amdhsa_group_segment_fixed_size 0
		.amdhsa_private_segment_fixed_size 0
		.amdhsa_kernarg_size 320
		.amdhsa_user_sgpr_count 6
		.amdhsa_user_sgpr_private_segment_buffer 1
		.amdhsa_user_sgpr_dispatch_ptr 0
		.amdhsa_user_sgpr_queue_ptr 0
		.amdhsa_user_sgpr_kernarg_segment_ptr 1
		.amdhsa_user_sgpr_dispatch_id 0
		.amdhsa_user_sgpr_flat_scratch_init 0
		.amdhsa_user_sgpr_private_segment_size 0
		.amdhsa_uses_dynamic_stack 0
		.amdhsa_system_sgpr_private_segment_wavefront_offset 0
		.amdhsa_system_sgpr_workgroup_id_x 1
		.amdhsa_system_sgpr_workgroup_id_y 0
		.amdhsa_system_sgpr_workgroup_id_z 0
		.amdhsa_system_sgpr_workgroup_info 0
		.amdhsa_system_vgpr_workitem_id 0
		.amdhsa_next_free_vgpr 6
		.amdhsa_next_free_sgpr 18
		.amdhsa_reserve_vcc 1
		.amdhsa_reserve_flat_scratch 0
		.amdhsa_float_round_mode_32 0
		.amdhsa_float_round_mode_16_64 0
		.amdhsa_float_denorm_mode_32 3
		.amdhsa_float_denorm_mode_16_64 3
		.amdhsa_dx10_clamp 1
		.amdhsa_ieee_mode 1
		.amdhsa_fp16_overflow 0
		.amdhsa_exception_fp_ieee_invalid_op 0
		.amdhsa_exception_fp_denorm_src 0
		.amdhsa_exception_fp_ieee_div_zero 0
		.amdhsa_exception_fp_ieee_overflow 0
		.amdhsa_exception_fp_ieee_underflow 0
		.amdhsa_exception_fp_ieee_inexact 0
		.amdhsa_exception_int_div_zero 0
	.end_amdhsa_kernel
	.section	.text._ZN9rocsparseL17coomvt_aos_kernelILj1024EiaaiiEEv20rocsparse_operation_lNS_24const_host_device_scalarIT4_EEPKT0_PKT1_PKT2_PT3_21rocsparse_index_base_b,"axG",@progbits,_ZN9rocsparseL17coomvt_aos_kernelILj1024EiaaiiEEv20rocsparse_operation_lNS_24const_host_device_scalarIT4_EEPKT0_PKT1_PKT2_PT3_21rocsparse_index_base_b,comdat
.Lfunc_end33:
	.size	_ZN9rocsparseL17coomvt_aos_kernelILj1024EiaaiiEEv20rocsparse_operation_lNS_24const_host_device_scalarIT4_EEPKT0_PKT1_PKT2_PT3_21rocsparse_index_base_b, .Lfunc_end33-_ZN9rocsparseL17coomvt_aos_kernelILj1024EiaaiiEEv20rocsparse_operation_lNS_24const_host_device_scalarIT4_EEPKT0_PKT1_PKT2_PT3_21rocsparse_index_base_b
                                        ; -- End function
	.set _ZN9rocsparseL17coomvt_aos_kernelILj1024EiaaiiEEv20rocsparse_operation_lNS_24const_host_device_scalarIT4_EEPKT0_PKT1_PKT2_PT3_21rocsparse_index_base_b.num_vgpr, 6
	.set _ZN9rocsparseL17coomvt_aos_kernelILj1024EiaaiiEEv20rocsparse_operation_lNS_24const_host_device_scalarIT4_EEPKT0_PKT1_PKT2_PT3_21rocsparse_index_base_b.num_agpr, 0
	.set _ZN9rocsparseL17coomvt_aos_kernelILj1024EiaaiiEEv20rocsparse_operation_lNS_24const_host_device_scalarIT4_EEPKT0_PKT1_PKT2_PT3_21rocsparse_index_base_b.numbered_sgpr, 18
	.set _ZN9rocsparseL17coomvt_aos_kernelILj1024EiaaiiEEv20rocsparse_operation_lNS_24const_host_device_scalarIT4_EEPKT0_PKT1_PKT2_PT3_21rocsparse_index_base_b.num_named_barrier, 0
	.set _ZN9rocsparseL17coomvt_aos_kernelILj1024EiaaiiEEv20rocsparse_operation_lNS_24const_host_device_scalarIT4_EEPKT0_PKT1_PKT2_PT3_21rocsparse_index_base_b.private_seg_size, 0
	.set _ZN9rocsparseL17coomvt_aos_kernelILj1024EiaaiiEEv20rocsparse_operation_lNS_24const_host_device_scalarIT4_EEPKT0_PKT1_PKT2_PT3_21rocsparse_index_base_b.uses_vcc, 1
	.set _ZN9rocsparseL17coomvt_aos_kernelILj1024EiaaiiEEv20rocsparse_operation_lNS_24const_host_device_scalarIT4_EEPKT0_PKT1_PKT2_PT3_21rocsparse_index_base_b.uses_flat_scratch, 0
	.set _ZN9rocsparseL17coomvt_aos_kernelILj1024EiaaiiEEv20rocsparse_operation_lNS_24const_host_device_scalarIT4_EEPKT0_PKT1_PKT2_PT3_21rocsparse_index_base_b.has_dyn_sized_stack, 0
	.set _ZN9rocsparseL17coomvt_aos_kernelILj1024EiaaiiEEv20rocsparse_operation_lNS_24const_host_device_scalarIT4_EEPKT0_PKT1_PKT2_PT3_21rocsparse_index_base_b.has_recursion, 0
	.set _ZN9rocsparseL17coomvt_aos_kernelILj1024EiaaiiEEv20rocsparse_operation_lNS_24const_host_device_scalarIT4_EEPKT0_PKT1_PKT2_PT3_21rocsparse_index_base_b.has_indirect_call, 0
	.section	.AMDGPU.csdata,"",@progbits
; Kernel info:
; codeLenInByte = 264
; TotalNumSgprs: 22
; NumVgprs: 6
; ScratchSize: 0
; MemoryBound: 0
; FloatMode: 240
; IeeeMode: 1
; LDSByteSize: 0 bytes/workgroup (compile time only)
; SGPRBlocks: 2
; VGPRBlocks: 1
; NumSGPRsForWavesPerEU: 22
; NumVGPRsForWavesPerEU: 6
; Occupancy: 10
; WaveLimiterHint : 1
; COMPUTE_PGM_RSRC2:SCRATCH_EN: 0
; COMPUTE_PGM_RSRC2:USER_SGPR: 6
; COMPUTE_PGM_RSRC2:TRAP_HANDLER: 0
; COMPUTE_PGM_RSRC2:TGID_X_EN: 1
; COMPUTE_PGM_RSRC2:TGID_Y_EN: 0
; COMPUTE_PGM_RSRC2:TGID_Z_EN: 0
; COMPUTE_PGM_RSRC2:TIDIG_COMP_CNT: 0
	.section	.text._ZN9rocsparseL26coomvn_aos_segmented_loopsILj256EiaaiiEEvlT0_NS_24const_host_device_scalarIT4_EEPKS1_PKT1_PKT2_PT3_PS1_PS3_21rocsparse_index_base_b,"axG",@progbits,_ZN9rocsparseL26coomvn_aos_segmented_loopsILj256EiaaiiEEvlT0_NS_24const_host_device_scalarIT4_EEPKS1_PKT1_PKT2_PT3_PS1_PS3_21rocsparse_index_base_b,comdat
	.globl	_ZN9rocsparseL26coomvn_aos_segmented_loopsILj256EiaaiiEEvlT0_NS_24const_host_device_scalarIT4_EEPKS1_PKT1_PKT2_PT3_PS1_PS3_21rocsparse_index_base_b ; -- Begin function _ZN9rocsparseL26coomvn_aos_segmented_loopsILj256EiaaiiEEvlT0_NS_24const_host_device_scalarIT4_EEPKS1_PKT1_PKT2_PT3_PS1_PS3_21rocsparse_index_base_b
	.p2align	8
	.type	_ZN9rocsparseL26coomvn_aos_segmented_loopsILj256EiaaiiEEvlT0_NS_24const_host_device_scalarIT4_EEPKS1_PKT1_PKT2_PT3_PS1_PS3_21rocsparse_index_base_b,@function
_ZN9rocsparseL26coomvn_aos_segmented_loopsILj256EiaaiiEEvlT0_NS_24const_host_device_scalarIT4_EEPKS1_PKT1_PKT2_PT3_PS1_PS3_21rocsparse_index_base_b: ; @_ZN9rocsparseL26coomvn_aos_segmented_loopsILj256EiaaiiEEvlT0_NS_24const_host_device_scalarIT4_EEPKS1_PKT1_PKT2_PT3_PS1_PS3_21rocsparse_index_base_b
; %bb.0:
	s_load_dwordx2 s[34:35], s[4:5], 0x48
	s_load_dwordx2 s[0:1], s[4:5], 0x10
	s_waitcnt lgkmcnt(0)
	s_bitcmp0_b32 s35, 0
	s_cbranch_scc0 .LBB34_2
; %bb.1:
	s_load_dword s33, s[0:1], 0x0
	s_cbranch_execz .LBB34_3
	s_branch .LBB34_4
.LBB34_2:
                                        ; implicit-def: $sgpr33
.LBB34_3:
	s_waitcnt lgkmcnt(0)
	s_mov_b32 s33, s0
.LBB34_4:
	s_waitcnt lgkmcnt(0)
	s_cmp_eq_u32 s33, 0
	s_cbranch_scc1 .LBB34_91
; %bb.5:
	s_load_dword s42, s[4:5], 0x8
	s_load_dwordx2 s[36:37], s[4:5], 0x0
	s_load_dwordx4 s[28:31], s[4:5], 0x18
	s_load_dwordx2 s[40:41], s[4:5], 0x28
	v_mov_b32_e32 v2, 0
	s_waitcnt lgkmcnt(0)
	s_mul_i32 s0, s6, s42
	v_lshl_or_b32 v1, s0, 8, v0
	v_cmp_gt_i64_e32 vcc, s[36:37], v[1:2]
	v_lshlrev_b64 v[7:8], 3, v[1:2]
	v_mov_b32_e32 v3, -1
	s_and_saveexec_b64 s[0:1], vcc
	s_cbranch_execz .LBB34_7
; %bb.6:
	v_mov_b32_e32 v3, s29
	v_add_co_u32_e32 v2, vcc, s28, v7
	v_addc_co_u32_e32 v3, vcc, v3, v8, vcc
	global_load_dwordx2 v[2:3], v[2:3], off glc slc
	v_mov_b32_e32 v5, s31
	v_add_co_u32_e32 v4, vcc, s30, v1
	s_ashr_i32 s2, s34, 31
	v_addc_co_u32_e32 v5, vcc, 0, v5, vcc
	v_mov_b32_e32 v6, s41
	s_sub_u32 s3, 0, s34
	s_subb_u32 s2, 0, s2
	global_load_sbyte v5, v[4:5], off glc slc
	v_mov_b32_e32 v4, s2
	s_waitcnt vmcnt(1)
	v_ashrrev_i32_e32 v9, 31, v3
	v_add_co_u32_e32 v3, vcc, s40, v3
	v_addc_co_u32_e32 v6, vcc, v6, v9, vcc
	v_add_co_u32_e32 v3, vcc, s3, v3
	v_addc_co_u32_e32 v4, vcc, v6, v4, vcc
	global_load_sbyte v4, v[3:4], off
	v_subrev_u32_e32 v3, s34, v2
	s_waitcnt vmcnt(0)
	v_mul_i32_i24_e32 v2, v4, v5
.LBB34_7:
	s_or_b64 exec, exec, s[0:1]
	v_lshlrev_b32_e32 v9, 2, v0
	v_or_b32_e32 v10, 0x400, v9
	v_cmp_eq_u32_e64 s[0:1], 0, v0
	v_cmp_ne_u32_e64 s[2:3], 0, v0
	v_add_u32_e32 v11, -4, v9
	ds_write2st64_b32 v9, v3, v2 offset1:4
	s_waitcnt lgkmcnt(0)
	s_barrier
	s_and_saveexec_b64 s[8:9], s[2:3]
	s_cbranch_execz .LBB34_11
; %bb.8:
	ds_read_b32 v4, v11
	s_waitcnt lgkmcnt(0)
	v_cmp_eq_u32_e32 vcc, v3, v4
	s_and_saveexec_b64 s[10:11], vcc
	s_cbranch_execz .LBB34_10
; %bb.9:
	v_add_u32_e32 v4, -4, v10
	ds_read_b32 v4, v4
	s_waitcnt lgkmcnt(0)
	v_add_u32_e32 v2, v4, v2
.LBB34_10:
	s_or_b64 exec, exec, s[10:11]
.LBB34_11:
	s_or_b64 exec, exec, s[8:9]
	v_cmp_lt_u32_e64 s[22:23], 1, v0
	v_add_u32_e32 v12, -8, v9
	s_barrier
	ds_write_b32 v10, v2
	s_waitcnt lgkmcnt(0)
	s_barrier
	s_and_saveexec_b64 s[8:9], s[22:23]
	s_cbranch_execz .LBB34_15
; %bb.12:
	ds_read_b32 v4, v12
	s_waitcnt lgkmcnt(0)
	v_cmp_eq_u32_e32 vcc, v3, v4
	s_and_saveexec_b64 s[10:11], vcc
	s_cbranch_execz .LBB34_14
; %bb.13:
	v_add_u32_e32 v4, -8, v10
	ds_read_b32 v4, v4
	s_waitcnt lgkmcnt(0)
	v_add_u32_e32 v2, v4, v2
.LBB34_14:
	s_or_b64 exec, exec, s[10:11]
.LBB34_15:
	s_or_b64 exec, exec, s[8:9]
	v_cmp_lt_u32_e64 s[8:9], 3, v0
	v_add_u32_e32 v13, -16, v9
	s_barrier
	ds_write_b32 v10, v2
	s_waitcnt lgkmcnt(0)
	s_barrier
	s_and_saveexec_b64 s[10:11], s[8:9]
	s_cbranch_execz .LBB34_19
; %bb.16:
	ds_read_b32 v4, v13
	s_waitcnt lgkmcnt(0)
	v_cmp_eq_u32_e32 vcc, v3, v4
	s_and_saveexec_b64 s[12:13], vcc
	s_cbranch_execz .LBB34_18
; %bb.17:
	v_add_u32_e32 v4, -16, v10
	ds_read_b32 v4, v4
	s_waitcnt lgkmcnt(0)
	v_add_u32_e32 v2, v4, v2
.LBB34_18:
	s_or_b64 exec, exec, s[12:13]
.LBB34_19:
	s_or_b64 exec, exec, s[10:11]
	v_cmp_lt_u32_e64 s[10:11], 7, v0
	v_subrev_u32_e32 v14, 32, v9
	s_barrier
	ds_write_b32 v10, v2
	s_waitcnt lgkmcnt(0)
	s_barrier
	s_and_saveexec_b64 s[12:13], s[10:11]
	s_cbranch_execz .LBB34_23
; %bb.20:
	ds_read_b32 v4, v14
	s_waitcnt lgkmcnt(0)
	v_cmp_eq_u32_e32 vcc, v3, v4
	s_and_saveexec_b64 s[14:15], vcc
	s_cbranch_execz .LBB34_22
; %bb.21:
	v_subrev_u32_e32 v4, 32, v10
	ds_read_b32 v4, v4
	s_waitcnt lgkmcnt(0)
	v_add_u32_e32 v2, v4, v2
.LBB34_22:
	s_or_b64 exec, exec, s[14:15]
.LBB34_23:
	s_or_b64 exec, exec, s[12:13]
	v_cmp_lt_u32_e64 s[12:13], 15, v0
	v_subrev_u32_e32 v15, 64, v9
	s_barrier
	ds_write_b32 v10, v2
	s_waitcnt lgkmcnt(0)
	s_barrier
	s_and_saveexec_b64 s[14:15], s[12:13]
	s_cbranch_execz .LBB34_27
; %bb.24:
	ds_read_b32 v4, v15
	s_waitcnt lgkmcnt(0)
	v_cmp_eq_u32_e32 vcc, v3, v4
	s_and_saveexec_b64 s[16:17], vcc
	s_cbranch_execz .LBB34_26
; %bb.25:
	v_subrev_u32_e32 v4, 64, v10
	ds_read_b32 v4, v4
	s_waitcnt lgkmcnt(0)
	v_add_u32_e32 v2, v4, v2
.LBB34_26:
	s_or_b64 exec, exec, s[16:17]
.LBB34_27:
	s_or_b64 exec, exec, s[14:15]
	v_cmp_lt_u32_e64 s[14:15], 31, v0
	s_barrier
	ds_write_b32 v10, v2
	s_waitcnt lgkmcnt(0)
	s_barrier
	s_and_saveexec_b64 s[16:17], s[14:15]
	s_cbranch_execz .LBB34_31
; %bb.28:
	v_add_u32_e32 v4, 0xffffff80, v9
	ds_read_b32 v4, v4
	s_waitcnt lgkmcnt(0)
	v_cmp_eq_u32_e32 vcc, v3, v4
	s_and_saveexec_b64 s[18:19], vcc
	s_cbranch_execz .LBB34_30
; %bb.29:
	v_add_u32_e32 v4, 0xffffff80, v10
	ds_read_b32 v4, v4
	s_waitcnt lgkmcnt(0)
	v_add_u32_e32 v2, v4, v2
.LBB34_30:
	s_or_b64 exec, exec, s[18:19]
.LBB34_31:
	s_or_b64 exec, exec, s[16:17]
	v_cmp_lt_u32_e64 s[16:17], 63, v0
	s_barrier
	ds_write_b32 v10, v2
	s_waitcnt lgkmcnt(0)
	s_barrier
	s_and_saveexec_b64 s[18:19], s[16:17]
	s_cbranch_execz .LBB34_35
; %bb.32:
	v_add_u32_e32 v4, 0xffffff00, v9
	ds_read_b32 v4, v4
	s_waitcnt lgkmcnt(0)
	v_cmp_eq_u32_e32 vcc, v3, v4
	s_and_saveexec_b64 s[20:21], vcc
	s_cbranch_execz .LBB34_34
; %bb.33:
	v_add_u32_e32 v4, 0xffffff00, v10
	ds_read_b32 v4, v4
	s_waitcnt lgkmcnt(0)
	v_add_u32_e32 v2, v4, v2
.LBB34_34:
	s_or_b64 exec, exec, s[20:21]
.LBB34_35:
	s_or_b64 exec, exec, s[18:19]
	s_load_dwordx2 s[38:39], s[4:5], 0x30
	s_movk_i32 s7, 0x7f
	v_cmp_lt_u32_e64 s[18:19], s7, v0
	s_waitcnt lgkmcnt(0)
	s_barrier
	ds_write_b32 v10, v2
	s_waitcnt lgkmcnt(0)
	s_barrier
	s_and_saveexec_b64 s[20:21], s[18:19]
	s_cbranch_execz .LBB34_39
; %bb.36:
	v_add_u32_e32 v4, 0xfffffe00, v9
	ds_read_b32 v4, v4
	s_waitcnt lgkmcnt(0)
	v_cmp_eq_u32_e32 vcc, v3, v4
	s_and_saveexec_b64 s[24:25], vcc
	s_cbranch_execz .LBB34_38
; %bb.37:
	v_add_u32_e32 v4, 0xfffffe00, v10
	ds_read_b32 v4, v4
	s_waitcnt lgkmcnt(0)
	v_add_u32_e32 v2, v4, v2
.LBB34_38:
	s_or_b64 exec, exec, s[24:25]
.LBB34_39:
	s_or_b64 exec, exec, s[20:21]
	s_movk_i32 s7, 0xff
	v_cmp_gt_u32_e64 s[20:21], s7, v0
	s_barrier
	ds_write_b32 v10, v2
	s_waitcnt lgkmcnt(0)
	s_barrier
	s_and_saveexec_b64 s[26:27], s[20:21]
	s_cbranch_execz .LBB34_42
; %bb.40:
	ds_read_b32 v4, v9 offset:4
	v_cmp_lt_i32_e64 s[24:25], -1, v3
	s_waitcnt lgkmcnt(0)
	v_cmp_ne_u32_e32 vcc, v3, v4
	s_and_b64 s[24:25], s[24:25], vcc
	s_and_b64 exec, exec, s[24:25]
	s_cbranch_execz .LBB34_42
; %bb.41:
	v_mov_b32_e32 v4, 0
	v_lshlrev_b64 v[4:5], 2, v[3:4]
	v_mov_b32_e32 v6, s39
	v_add_co_u32_e32 v4, vcc, s38, v4
	v_addc_co_u32_e32 v5, vcc, v6, v5, vcc
	global_load_dword v6, v[4:5], off
	s_waitcnt vmcnt(0)
	v_mad_u64_u32 v[16:17], s[24:25], v2, s33, v[6:7]
	global_store_dword v[4:5], v16, off
.LBB34_42:
	s_or_b64 exec, exec, s[26:27]
	s_load_dwordx4 s[24:27], s[4:5], 0x38
	s_cmp_lt_i32 s42, 2
	s_cbranch_scc1 .LBB34_89
; %bb.43:
	s_ashr_i32 s4, s34, 31
	s_sub_u32 s5, 0, s34
	s_subb_u32 s4, 0, s4
	s_add_u32 s7, s40, s5
	s_addc_u32 s35, s41, s4
	s_movk_i32 s4, 0x100
	v_add_co_u32_e32 v5, vcc, s4, v1
	v_addc_co_u32_e64 v6, s[4:5], 0, 0, vcc
	v_mov_b32_e32 v1, s29
	v_add_co_u32_e32 v2, vcc, s28, v7
	v_addc_co_u32_e32 v1, vcc, v1, v8, vcc
	s_movk_i32 s4, 0x800
	v_add_co_u32_e32 v7, vcc, s4, v2
	v_subrev_u32_e32 v16, 32, v10
	v_subrev_u32_e32 v17, 64, v10
	v_add_u32_e32 v18, 0xffffff80, v9
	v_add_u32_e32 v19, 0xffffff80, v10
	;; [unrolled: 1-line block ×6, first 2 shown]
	v_addc_co_u32_e32 v8, vcc, 0, v1, vcc
	s_add_i32 s42, s42, -1
	v_mov_b32_e32 v4, 0
	s_mov_b32 s29, 0
	s_branch .LBB34_45
.LBB34_44:                              ;   in Loop: Header=BB34_45 Depth=1
	s_or_b64 exec, exec, s[40:41]
	v_add_co_u32_e32 v5, vcc, 0x100, v5
	v_addc_co_u32_e32 v6, vcc, 0, v6, vcc
	v_add_co_u32_e32 v7, vcc, 0x800, v7
	s_add_i32 s42, s42, -1
	s_cmp_eq_u32 s42, 0
	v_addc_co_u32_e32 v8, vcc, 0, v8, vcc
	s_cbranch_scc1 .LBB34_89
.LBB34_45:                              ; =>This Inner Loop Header: Depth=1
	v_cmp_gt_i64_e32 vcc, s[36:37], v[5:6]
	v_mov_b32_e32 v3, -1
	v_mov_b32_e32 v2, 0
	s_and_saveexec_b64 s[4:5], vcc
	s_cbranch_execz .LBB34_47
; %bb.46:                               ;   in Loop: Header=BB34_45 Depth=1
	global_load_dwordx2 v[1:2], v[7:8], off glc slc
	v_mov_b32_e32 v3, s31
	v_add_co_u32_e32 v24, vcc, s30, v5
	v_addc_co_u32_e32 v25, vcc, v3, v6, vcc
	v_mov_b32_e32 v26, s35
	global_load_sbyte v24, v[24:25], off glc slc
	s_waitcnt vmcnt(1)
	v_ashrrev_i32_e32 v3, 31, v2
	v_add_co_u32_e32 v2, vcc, s7, v2
	v_addc_co_u32_e32 v3, vcc, v26, v3, vcc
	global_load_sbyte v2, v[2:3], off
	v_subrev_u32_e32 v3, s34, v1
	s_waitcnt vmcnt(0)
	v_mul_i32_i24_e32 v2, v2, v24
.LBB34_47:                              ;   in Loop: Header=BB34_45 Depth=1
	s_or_b64 exec, exec, s[4:5]
	s_and_saveexec_b64 s[4:5], s[0:1]
	s_cbranch_execz .LBB34_54
; %bb.48:                               ;   in Loop: Header=BB34_45 Depth=1
	ds_read_b32 v1, v4 offset:1020
	s_waitcnt lgkmcnt(0)
	v_readfirstlane_b32 s28, v1
	v_cmp_ne_u32_e32 vcc, v3, v1
	s_and_saveexec_b64 s[40:41], vcc
	s_xor_b64 s[40:41], exec, s[40:41]
	s_cbranch_execz .LBB34_51
; %bb.49:                               ;   in Loop: Header=BB34_45 Depth=1
	s_cmp_lt_i32 s28, 0
	s_cbranch_scc1 .LBB34_51
; %bb.50:                               ;   in Loop: Header=BB34_45 Depth=1
	s_lshl_b64 s[44:45], s[28:29], 2
	s_add_u32 s44, s38, s44
	s_addc_u32 s45, s39, s45
	global_load_dword v1, v4, s[44:45]
	ds_read_b32 v24, v4 offset:2044
	s_waitcnt lgkmcnt(0)
	v_mul_lo_u32 v24, v24, s33
	s_waitcnt vmcnt(0)
	v_add_u32_e32 v1, v24, v1
	global_store_dword v4, v1, s[44:45]
.LBB34_51:                              ;   in Loop: Header=BB34_45 Depth=1
	s_andn2_saveexec_b64 s[40:41], s[40:41]
	s_cbranch_execz .LBB34_53
; %bb.52:                               ;   in Loop: Header=BB34_45 Depth=1
	ds_read_b32 v1, v4 offset:2044
	s_waitcnt lgkmcnt(0)
	v_add_u32_e32 v2, v1, v2
.LBB34_53:                              ;   in Loop: Header=BB34_45 Depth=1
	s_or_b64 exec, exec, s[40:41]
.LBB34_54:                              ;   in Loop: Header=BB34_45 Depth=1
	s_or_b64 exec, exec, s[4:5]
	s_waitcnt vmcnt(0) lgkmcnt(0)
	s_barrier
	ds_write_b32 v9, v3
	ds_write_b32 v10, v2
	s_waitcnt lgkmcnt(0)
	s_barrier
	s_and_saveexec_b64 s[4:5], s[2:3]
	s_cbranch_execz .LBB34_58
; %bb.55:                               ;   in Loop: Header=BB34_45 Depth=1
	ds_read_b32 v1, v11
	s_waitcnt lgkmcnt(0)
	v_cmp_eq_u32_e32 vcc, v3, v1
	s_and_saveexec_b64 s[40:41], vcc
	s_cbranch_execz .LBB34_57
; %bb.56:                               ;   in Loop: Header=BB34_45 Depth=1
	v_add_u32_e32 v1, -4, v10
	ds_read_b32 v1, v1
	s_waitcnt lgkmcnt(0)
	v_add_u32_e32 v2, v1, v2
.LBB34_57:                              ;   in Loop: Header=BB34_45 Depth=1
	s_or_b64 exec, exec, s[40:41]
.LBB34_58:                              ;   in Loop: Header=BB34_45 Depth=1
	s_or_b64 exec, exec, s[4:5]
	s_barrier
	ds_write_b32 v10, v2
	s_waitcnt lgkmcnt(0)
	s_barrier
	s_and_saveexec_b64 s[4:5], s[22:23]
	s_cbranch_execz .LBB34_62
; %bb.59:                               ;   in Loop: Header=BB34_45 Depth=1
	ds_read_b32 v1, v12
	s_waitcnt lgkmcnt(0)
	v_cmp_eq_u32_e32 vcc, v3, v1
	s_and_saveexec_b64 s[40:41], vcc
	s_cbranch_execz .LBB34_61
; %bb.60:                               ;   in Loop: Header=BB34_45 Depth=1
	v_add_u32_e32 v1, -8, v10
	ds_read_b32 v1, v1
	s_waitcnt lgkmcnt(0)
	v_add_u32_e32 v2, v1, v2
.LBB34_61:                              ;   in Loop: Header=BB34_45 Depth=1
	s_or_b64 exec, exec, s[40:41]
.LBB34_62:                              ;   in Loop: Header=BB34_45 Depth=1
	s_or_b64 exec, exec, s[4:5]
	s_barrier
	;; [unrolled: 21-line block ×3, first 2 shown]
	ds_write_b32 v10, v2
	s_waitcnt lgkmcnt(0)
	s_barrier
	s_and_saveexec_b64 s[4:5], s[10:11]
	s_cbranch_execz .LBB34_70
; %bb.67:                               ;   in Loop: Header=BB34_45 Depth=1
	ds_read_b32 v1, v14
	s_waitcnt lgkmcnt(0)
	v_cmp_eq_u32_e32 vcc, v3, v1
	s_and_saveexec_b64 s[40:41], vcc
	s_cbranch_execz .LBB34_69
; %bb.68:                               ;   in Loop: Header=BB34_45 Depth=1
	ds_read_b32 v1, v16
	s_waitcnt lgkmcnt(0)
	v_add_u32_e32 v2, v1, v2
.LBB34_69:                              ;   in Loop: Header=BB34_45 Depth=1
	s_or_b64 exec, exec, s[40:41]
.LBB34_70:                              ;   in Loop: Header=BB34_45 Depth=1
	s_or_b64 exec, exec, s[4:5]
	s_barrier
	ds_write_b32 v10, v2
	s_waitcnt lgkmcnt(0)
	s_barrier
	s_and_saveexec_b64 s[4:5], s[12:13]
	s_cbranch_execz .LBB34_74
; %bb.71:                               ;   in Loop: Header=BB34_45 Depth=1
	ds_read_b32 v1, v15
	s_waitcnt lgkmcnt(0)
	v_cmp_eq_u32_e32 vcc, v3, v1
	s_and_saveexec_b64 s[40:41], vcc
	s_cbranch_execz .LBB34_73
; %bb.72:                               ;   in Loop: Header=BB34_45 Depth=1
	ds_read_b32 v1, v17
	s_waitcnt lgkmcnt(0)
	v_add_u32_e32 v2, v1, v2
.LBB34_73:                              ;   in Loop: Header=BB34_45 Depth=1
	s_or_b64 exec, exec, s[40:41]
.LBB34_74:                              ;   in Loop: Header=BB34_45 Depth=1
	s_or_b64 exec, exec, s[4:5]
	s_barrier
	ds_write_b32 v10, v2
	s_waitcnt lgkmcnt(0)
	s_barrier
	s_and_saveexec_b64 s[4:5], s[14:15]
	s_cbranch_execz .LBB34_78
; %bb.75:                               ;   in Loop: Header=BB34_45 Depth=1
	ds_read_b32 v1, v18
	s_waitcnt lgkmcnt(0)
	v_cmp_eq_u32_e32 vcc, v3, v1
	s_and_saveexec_b64 s[40:41], vcc
	s_cbranch_execz .LBB34_77
; %bb.76:                               ;   in Loop: Header=BB34_45 Depth=1
	ds_read_b32 v1, v19
	s_waitcnt lgkmcnt(0)
	v_add_u32_e32 v2, v1, v2
.LBB34_77:                              ;   in Loop: Header=BB34_45 Depth=1
	s_or_b64 exec, exec, s[40:41]
.LBB34_78:                              ;   in Loop: Header=BB34_45 Depth=1
	s_or_b64 exec, exec, s[4:5]
	s_barrier
	ds_write_b32 v10, v2
	s_waitcnt lgkmcnt(0)
	s_barrier
	s_and_saveexec_b64 s[4:5], s[16:17]
	s_cbranch_execz .LBB34_82
; %bb.79:                               ;   in Loop: Header=BB34_45 Depth=1
	ds_read_b32 v1, v20
	s_waitcnt lgkmcnt(0)
	v_cmp_eq_u32_e32 vcc, v3, v1
	s_and_saveexec_b64 s[40:41], vcc
	s_cbranch_execz .LBB34_81
; %bb.80:                               ;   in Loop: Header=BB34_45 Depth=1
	ds_read_b32 v1, v21
	s_waitcnt lgkmcnt(0)
	v_add_u32_e32 v2, v1, v2
.LBB34_81:                              ;   in Loop: Header=BB34_45 Depth=1
	s_or_b64 exec, exec, s[40:41]
.LBB34_82:                              ;   in Loop: Header=BB34_45 Depth=1
	s_or_b64 exec, exec, s[4:5]
	s_barrier
	ds_write_b32 v10, v2
	s_waitcnt lgkmcnt(0)
	s_barrier
	s_and_saveexec_b64 s[4:5], s[18:19]
	s_cbranch_execz .LBB34_86
; %bb.83:                               ;   in Loop: Header=BB34_45 Depth=1
	ds_read_b32 v1, v22
	s_waitcnt lgkmcnt(0)
	v_cmp_eq_u32_e32 vcc, v3, v1
	s_and_saveexec_b64 s[40:41], vcc
	s_cbranch_execz .LBB34_85
; %bb.84:                               ;   in Loop: Header=BB34_45 Depth=1
	ds_read_b32 v1, v23
	s_waitcnt lgkmcnt(0)
	v_add_u32_e32 v2, v1, v2
.LBB34_85:                              ;   in Loop: Header=BB34_45 Depth=1
	s_or_b64 exec, exec, s[40:41]
.LBB34_86:                              ;   in Loop: Header=BB34_45 Depth=1
	s_or_b64 exec, exec, s[4:5]
	s_barrier
	ds_write_b32 v10, v2
	s_waitcnt lgkmcnt(0)
	s_barrier
	s_and_saveexec_b64 s[40:41], s[20:21]
	s_cbranch_execz .LBB34_44
; %bb.87:                               ;   in Loop: Header=BB34_45 Depth=1
	ds_read_b32 v1, v9 offset:4
	v_cmp_lt_i32_e64 s[4:5], -1, v3
	s_waitcnt lgkmcnt(0)
	v_cmp_ne_u32_e32 vcc, v3, v1
	s_and_b64 s[4:5], s[4:5], vcc
	s_and_b64 exec, exec, s[4:5]
	s_cbranch_execz .LBB34_44
; %bb.88:                               ;   in Loop: Header=BB34_45 Depth=1
	v_lshlrev_b64 v[24:25], 2, v[3:4]
	v_mov_b32_e32 v1, s39
	v_add_co_u32_e32 v24, vcc, s38, v24
	v_addc_co_u32_e32 v25, vcc, v1, v25, vcc
	global_load_dword v1, v[24:25], off
	s_waitcnt vmcnt(0)
	v_mad_u64_u32 v[26:27], s[4:5], v2, s33, v[1:2]
	global_store_dword v[24:25], v26, off
	s_branch .LBB34_44
.LBB34_89:
	s_movk_i32 s0, 0xff
	v_cmp_eq_u32_e32 vcc, s0, v0
	s_and_saveexec_b64 s[0:1], vcc
	s_cbranch_execz .LBB34_91
; %bb.90:
	s_mov_b32 s7, 0
	s_lshl_b64 s[0:1], s[6:7], 2
	s_waitcnt lgkmcnt(0)
	s_add_u32 s2, s24, s0
	v_mul_lo_u32 v1, v2, s33
	s_addc_u32 s3, s25, s1
	v_mov_b32_e32 v0, 0
	s_add_u32 s0, s26, s0
	s_addc_u32 s1, s27, s1
	global_store_dword v0, v3, s[2:3] glc slc
	global_store_dword v0, v1, s[0:1] glc slc
.LBB34_91:
	s_endpgm
	.section	.rodata,"a",@progbits
	.p2align	6, 0x0
	.amdhsa_kernel _ZN9rocsparseL26coomvn_aos_segmented_loopsILj256EiaaiiEEvlT0_NS_24const_host_device_scalarIT4_EEPKS1_PKT1_PKT2_PT3_PS1_PS3_21rocsparse_index_base_b
		.amdhsa_group_segment_fixed_size 2048
		.amdhsa_private_segment_fixed_size 0
		.amdhsa_kernarg_size 80
		.amdhsa_user_sgpr_count 6
		.amdhsa_user_sgpr_private_segment_buffer 1
		.amdhsa_user_sgpr_dispatch_ptr 0
		.amdhsa_user_sgpr_queue_ptr 0
		.amdhsa_user_sgpr_kernarg_segment_ptr 1
		.amdhsa_user_sgpr_dispatch_id 0
		.amdhsa_user_sgpr_flat_scratch_init 0
		.amdhsa_user_sgpr_private_segment_size 0
		.amdhsa_uses_dynamic_stack 0
		.amdhsa_system_sgpr_private_segment_wavefront_offset 0
		.amdhsa_system_sgpr_workgroup_id_x 1
		.amdhsa_system_sgpr_workgroup_id_y 0
		.amdhsa_system_sgpr_workgroup_id_z 0
		.amdhsa_system_sgpr_workgroup_info 0
		.amdhsa_system_vgpr_workitem_id 0
		.amdhsa_next_free_vgpr 28
		.amdhsa_next_free_sgpr 46
		.amdhsa_reserve_vcc 1
		.amdhsa_reserve_flat_scratch 0
		.amdhsa_float_round_mode_32 0
		.amdhsa_float_round_mode_16_64 0
		.amdhsa_float_denorm_mode_32 3
		.amdhsa_float_denorm_mode_16_64 3
		.amdhsa_dx10_clamp 1
		.amdhsa_ieee_mode 1
		.amdhsa_fp16_overflow 0
		.amdhsa_exception_fp_ieee_invalid_op 0
		.amdhsa_exception_fp_denorm_src 0
		.amdhsa_exception_fp_ieee_div_zero 0
		.amdhsa_exception_fp_ieee_overflow 0
		.amdhsa_exception_fp_ieee_underflow 0
		.amdhsa_exception_fp_ieee_inexact 0
		.amdhsa_exception_int_div_zero 0
	.end_amdhsa_kernel
	.section	.text._ZN9rocsparseL26coomvn_aos_segmented_loopsILj256EiaaiiEEvlT0_NS_24const_host_device_scalarIT4_EEPKS1_PKT1_PKT2_PT3_PS1_PS3_21rocsparse_index_base_b,"axG",@progbits,_ZN9rocsparseL26coomvn_aos_segmented_loopsILj256EiaaiiEEvlT0_NS_24const_host_device_scalarIT4_EEPKS1_PKT1_PKT2_PT3_PS1_PS3_21rocsparse_index_base_b,comdat
.Lfunc_end34:
	.size	_ZN9rocsparseL26coomvn_aos_segmented_loopsILj256EiaaiiEEvlT0_NS_24const_host_device_scalarIT4_EEPKS1_PKT1_PKT2_PT3_PS1_PS3_21rocsparse_index_base_b, .Lfunc_end34-_ZN9rocsparseL26coomvn_aos_segmented_loopsILj256EiaaiiEEvlT0_NS_24const_host_device_scalarIT4_EEPKS1_PKT1_PKT2_PT3_PS1_PS3_21rocsparse_index_base_b
                                        ; -- End function
	.set _ZN9rocsparseL26coomvn_aos_segmented_loopsILj256EiaaiiEEvlT0_NS_24const_host_device_scalarIT4_EEPKS1_PKT1_PKT2_PT3_PS1_PS3_21rocsparse_index_base_b.num_vgpr, 28
	.set _ZN9rocsparseL26coomvn_aos_segmented_loopsILj256EiaaiiEEvlT0_NS_24const_host_device_scalarIT4_EEPKS1_PKT1_PKT2_PT3_PS1_PS3_21rocsparse_index_base_b.num_agpr, 0
	.set _ZN9rocsparseL26coomvn_aos_segmented_loopsILj256EiaaiiEEvlT0_NS_24const_host_device_scalarIT4_EEPKS1_PKT1_PKT2_PT3_PS1_PS3_21rocsparse_index_base_b.numbered_sgpr, 46
	.set _ZN9rocsparseL26coomvn_aos_segmented_loopsILj256EiaaiiEEvlT0_NS_24const_host_device_scalarIT4_EEPKS1_PKT1_PKT2_PT3_PS1_PS3_21rocsparse_index_base_b.num_named_barrier, 0
	.set _ZN9rocsparseL26coomvn_aos_segmented_loopsILj256EiaaiiEEvlT0_NS_24const_host_device_scalarIT4_EEPKS1_PKT1_PKT2_PT3_PS1_PS3_21rocsparse_index_base_b.private_seg_size, 0
	.set _ZN9rocsparseL26coomvn_aos_segmented_loopsILj256EiaaiiEEvlT0_NS_24const_host_device_scalarIT4_EEPKS1_PKT1_PKT2_PT3_PS1_PS3_21rocsparse_index_base_b.uses_vcc, 1
	.set _ZN9rocsparseL26coomvn_aos_segmented_loopsILj256EiaaiiEEvlT0_NS_24const_host_device_scalarIT4_EEPKS1_PKT1_PKT2_PT3_PS1_PS3_21rocsparse_index_base_b.uses_flat_scratch, 0
	.set _ZN9rocsparseL26coomvn_aos_segmented_loopsILj256EiaaiiEEvlT0_NS_24const_host_device_scalarIT4_EEPKS1_PKT1_PKT2_PT3_PS1_PS3_21rocsparse_index_base_b.has_dyn_sized_stack, 0
	.set _ZN9rocsparseL26coomvn_aos_segmented_loopsILj256EiaaiiEEvlT0_NS_24const_host_device_scalarIT4_EEPKS1_PKT1_PKT2_PT3_PS1_PS3_21rocsparse_index_base_b.has_recursion, 0
	.set _ZN9rocsparseL26coomvn_aos_segmented_loopsILj256EiaaiiEEvlT0_NS_24const_host_device_scalarIT4_EEPKS1_PKT1_PKT2_PT3_PS1_PS3_21rocsparse_index_base_b.has_indirect_call, 0
	.section	.AMDGPU.csdata,"",@progbits
; Kernel info:
; codeLenInByte = 2412
; TotalNumSgprs: 50
; NumVgprs: 28
; ScratchSize: 0
; MemoryBound: 0
; FloatMode: 240
; IeeeMode: 1
; LDSByteSize: 2048 bytes/workgroup (compile time only)
; SGPRBlocks: 6
; VGPRBlocks: 6
; NumSGPRsForWavesPerEU: 50
; NumVGPRsForWavesPerEU: 28
; Occupancy: 9
; WaveLimiterHint : 1
; COMPUTE_PGM_RSRC2:SCRATCH_EN: 0
; COMPUTE_PGM_RSRC2:USER_SGPR: 6
; COMPUTE_PGM_RSRC2:TRAP_HANDLER: 0
; COMPUTE_PGM_RSRC2:TGID_X_EN: 1
; COMPUTE_PGM_RSRC2:TGID_Y_EN: 0
; COMPUTE_PGM_RSRC2:TGID_Z_EN: 0
; COMPUTE_PGM_RSRC2:TIDIG_COMP_CNT: 0
	.section	.text._ZN9rocsparseL29coomvn_segmented_loops_reduceILj256EiiiEEvT0_NS_24const_host_device_scalarIT2_EEPKS1_PKS3_PT1_b,"axG",@progbits,_ZN9rocsparseL29coomvn_segmented_loops_reduceILj256EiiiEEvT0_NS_24const_host_device_scalarIT2_EEPKS1_PKS3_PT1_b,comdat
	.globl	_ZN9rocsparseL29coomvn_segmented_loops_reduceILj256EiiiEEvT0_NS_24const_host_device_scalarIT2_EEPKS1_PKS3_PT1_b ; -- Begin function _ZN9rocsparseL29coomvn_segmented_loops_reduceILj256EiiiEEvT0_NS_24const_host_device_scalarIT2_EEPKS1_PKS3_PT1_b
	.p2align	8
	.type	_ZN9rocsparseL29coomvn_segmented_loops_reduceILj256EiiiEEvT0_NS_24const_host_device_scalarIT2_EEPKS1_PKS3_PT1_b,@function
_ZN9rocsparseL29coomvn_segmented_loops_reduceILj256EiiiEEvT0_NS_24const_host_device_scalarIT2_EEPKS1_PKS3_PT1_b: ; @_ZN9rocsparseL29coomvn_segmented_loops_reduceILj256EiiiEEvT0_NS_24const_host_device_scalarIT2_EEPKS1_PKS3_PT1_b
; %bb.0:
	s_load_dword s2, s[4:5], 0x28
	s_load_dwordx2 s[0:1], s[4:5], 0x8
	s_waitcnt lgkmcnt(0)
	s_bitcmp0_b32 s2, 0
	s_cbranch_scc0 .LBB35_2
; %bb.1:
	s_load_dword s1, s[0:1], 0x0
	s_cbranch_execz .LBB35_3
	s_branch .LBB35_4
.LBB35_2:
                                        ; implicit-def: $sgpr1
.LBB35_3:
	s_waitcnt lgkmcnt(0)
	s_mov_b32 s1, s0
.LBB35_4:
	s_waitcnt lgkmcnt(0)
	s_cmp_eq_u32 s1, 0
	s_cbranch_scc1 .LBB35_46
; %bb.5:
	s_load_dword s28, s[4:5], 0x0
	s_waitcnt lgkmcnt(0)
	s_cmp_lt_i32 s28, 1
	s_cbranch_scc1 .LBB35_46
; %bb.6:
	v_subrev_co_u32_e32 v1, vcc, 1, v0
	v_mov_b32_e32 v2, 0x400
	s_load_dwordx4 s[8:11], s[4:5], 0x10
	s_load_dwordx2 s[6:7], s[4:5], 0x20
	s_xor_b64 s[4:5], vcc, -1
	v_lshl_add_u32 v7, v1, 2, v2
	v_subrev_co_u32_e32 v1, vcc, 2, v0
	s_xor_b64 s[12:13], vcc, -1
	v_lshl_add_u32 v8, v1, 2, v2
	v_subrev_co_u32_e32 v1, vcc, 4, v0
	;; [unrolled: 3-line block ×6, first 2 shown]
	s_movk_i32 s0, 0x80
	v_lshlrev_b32_e32 v5, 2, v0
	s_xor_b64 s[22:23], vcc, -1
	v_lshl_add_u32 v18, v1, 2, v2
	v_subrev_co_u32_e32 v1, vcc, s0, v0
	s_movk_i32 s0, 0xff
	v_or_b32_e32 v6, 0x400, v5
	v_add_u32_e32 v9, -16, v5
	v_subrev_u32_e32 v11, 32, v5
	v_subrev_u32_e32 v13, 64, v5
	v_add_u32_e32 v15, 0xffffff80, v5
	v_add_u32_e32 v17, 0xffffff00, v5
	s_xor_b64 s[24:25], vcc, -1
	v_add_u32_e32 v19, 0xfffffe00, v5
	v_lshl_add_u32 v20, v1, 2, v2
	v_cmp_gt_u32_e32 vcc, s0, v0
	s_mov_b32 s29, 0
	v_mov_b32_e32 v2, 0
	s_branch .LBB35_8
.LBB35_7:                               ;   in Loop: Header=BB35_8 Depth=1
	s_or_b64 exec, exec, s[2:3]
	s_addk_i32 s29, 0x100
	s_cmp_lt_i32 s29, s28
	s_waitcnt vmcnt(0)
	s_barrier
	s_cbranch_scc0 .LBB35_46
.LBB35_8:                               ; =>This Inner Loop Header: Depth=1
	v_add_u32_e32 v3, s29, v0
	v_cmp_gt_i32_e64 s[0:1], s28, v3
	v_mov_b32_e32 v1, -1
	v_mov_b32_e32 v4, 0
	s_and_saveexec_b64 s[2:3], s[0:1]
	s_cbranch_execz .LBB35_10
; %bb.9:                                ;   in Loop: Header=BB35_8 Depth=1
	v_ashrrev_i32_e32 v4, 31, v3
	v_lshlrev_b64 v[3:4], 2, v[3:4]
	s_waitcnt lgkmcnt(0)
	v_mov_b32_e32 v1, s11
	v_add_co_u32_e64 v21, s[0:1], s10, v3
	v_addc_co_u32_e64 v22, s[0:1], v1, v4, s[0:1]
	v_mov_b32_e32 v1, s9
	v_add_co_u32_e64 v23, s[0:1], s8, v3
	v_addc_co_u32_e64 v24, s[0:1], v1, v4, s[0:1]
	global_load_dword v1, v[23:24], off
	global_load_dword v4, v[21:22], off
.LBB35_10:                              ;   in Loop: Header=BB35_8 Depth=1
	s_or_b64 exec, exec, s[2:3]
	s_waitcnt vmcnt(1)
	ds_write_b32 v5, v1
	s_waitcnt vmcnt(0)
	ds_write_b32 v6, v4
	v_mov_b32_e32 v1, 0
	v_mov_b32_e32 v3, 0
	s_waitcnt lgkmcnt(0)
	s_barrier
	s_and_saveexec_b64 s[2:3], s[4:5]
	s_cbranch_execz .LBB35_14
; %bb.11:                               ;   in Loop: Header=BB35_8 Depth=1
	v_add_u32_e32 v3, -4, v5
	ds_read2_b32 v[3:4], v3 offset1:1
	s_waitcnt lgkmcnt(0)
	v_cmp_eq_u32_e64 s[0:1], v4, v3
	v_mov_b32_e32 v3, 0
	s_and_saveexec_b64 s[26:27], s[0:1]
; %bb.12:                               ;   in Loop: Header=BB35_8 Depth=1
	ds_read_b32 v3, v7
; %bb.13:                               ;   in Loop: Header=BB35_8 Depth=1
	s_or_b64 exec, exec, s[26:27]
.LBB35_14:                              ;   in Loop: Header=BB35_8 Depth=1
	s_or_b64 exec, exec, s[2:3]
	s_waitcnt lgkmcnt(0)
	s_barrier
	ds_read_b32 v4, v6
	s_waitcnt lgkmcnt(0)
	v_add_u32_e32 v3, v4, v3
	ds_write_b32 v6, v3
	s_waitcnt lgkmcnt(0)
	s_barrier
	s_and_saveexec_b64 s[2:3], s[12:13]
	s_cbranch_execz .LBB35_18
; %bb.15:                               ;   in Loop: Header=BB35_8 Depth=1
	v_add_u32_e32 v1, -8, v5
	ds_read_b32 v3, v5
	ds_read_b32 v1, v1
	s_waitcnt lgkmcnt(0)
	v_cmp_eq_u32_e64 s[0:1], v3, v1
	v_mov_b32_e32 v1, 0
	s_and_saveexec_b64 s[26:27], s[0:1]
; %bb.16:                               ;   in Loop: Header=BB35_8 Depth=1
	ds_read_b32 v1, v8
; %bb.17:                               ;   in Loop: Header=BB35_8 Depth=1
	s_or_b64 exec, exec, s[26:27]
.LBB35_18:                              ;   in Loop: Header=BB35_8 Depth=1
	s_or_b64 exec, exec, s[2:3]
	s_waitcnt lgkmcnt(0)
	s_barrier
	ds_read_b32 v3, v6
	s_waitcnt lgkmcnt(0)
	v_add_u32_e32 v1, v3, v1
	ds_write_b32 v6, v1
	v_mov_b32_e32 v1, 0
	v_mov_b32_e32 v3, 0
	s_waitcnt lgkmcnt(0)
	s_barrier
	s_and_saveexec_b64 s[2:3], s[14:15]
	s_cbranch_execz .LBB35_22
; %bb.19:                               ;   in Loop: Header=BB35_8 Depth=1
	ds_read_b32 v3, v5
	ds_read_b32 v4, v9
	s_waitcnt lgkmcnt(0)
	v_cmp_eq_u32_e64 s[0:1], v3, v4
	v_mov_b32_e32 v3, 0
	s_and_saveexec_b64 s[26:27], s[0:1]
; %bb.20:                               ;   in Loop: Header=BB35_8 Depth=1
	ds_read_b32 v3, v10
; %bb.21:                               ;   in Loop: Header=BB35_8 Depth=1
	s_or_b64 exec, exec, s[26:27]
.LBB35_22:                              ;   in Loop: Header=BB35_8 Depth=1
	s_or_b64 exec, exec, s[2:3]
	s_waitcnt lgkmcnt(0)
	s_barrier
	ds_read_b32 v4, v6
	s_waitcnt lgkmcnt(0)
	v_add_u32_e32 v3, v4, v3
	ds_write_b32 v6, v3
	s_waitcnt lgkmcnt(0)
	s_barrier
	s_and_saveexec_b64 s[2:3], s[16:17]
	s_cbranch_execz .LBB35_26
; %bb.23:                               ;   in Loop: Header=BB35_8 Depth=1
	ds_read_b32 v1, v5
	ds_read_b32 v3, v11
	s_waitcnt lgkmcnt(0)
	v_cmp_eq_u32_e64 s[0:1], v1, v3
	v_mov_b32_e32 v1, 0
	s_and_saveexec_b64 s[26:27], s[0:1]
; %bb.24:                               ;   in Loop: Header=BB35_8 Depth=1
	ds_read_b32 v1, v12
; %bb.25:                               ;   in Loop: Header=BB35_8 Depth=1
	s_or_b64 exec, exec, s[26:27]
.LBB35_26:                              ;   in Loop: Header=BB35_8 Depth=1
	s_or_b64 exec, exec, s[2:3]
	s_waitcnt lgkmcnt(0)
	s_barrier
	ds_read_b32 v3, v6
	s_waitcnt lgkmcnt(0)
	v_add_u32_e32 v1, v3, v1
	ds_write_b32 v6, v1
	v_mov_b32_e32 v1, 0
	v_mov_b32_e32 v3, 0
	s_waitcnt lgkmcnt(0)
	s_barrier
	s_and_saveexec_b64 s[2:3], s[18:19]
	s_cbranch_execz .LBB35_30
; %bb.27:                               ;   in Loop: Header=BB35_8 Depth=1
	ds_read_b32 v3, v5
	ds_read_b32 v4, v13
	s_waitcnt lgkmcnt(0)
	v_cmp_eq_u32_e64 s[0:1], v3, v4
	v_mov_b32_e32 v3, 0
	s_and_saveexec_b64 s[26:27], s[0:1]
; %bb.28:                               ;   in Loop: Header=BB35_8 Depth=1
	ds_read_b32 v3, v14
; %bb.29:                               ;   in Loop: Header=BB35_8 Depth=1
	s_or_b64 exec, exec, s[26:27]
.LBB35_30:                              ;   in Loop: Header=BB35_8 Depth=1
	s_or_b64 exec, exec, s[2:3]
	s_waitcnt lgkmcnt(0)
	s_barrier
	ds_read_b32 v4, v6
	s_waitcnt lgkmcnt(0)
	v_add_u32_e32 v3, v4, v3
	ds_write_b32 v6, v3
	s_waitcnt lgkmcnt(0)
	s_barrier
	s_and_saveexec_b64 s[2:3], s[20:21]
	s_cbranch_execz .LBB35_34
; %bb.31:                               ;   in Loop: Header=BB35_8 Depth=1
	ds_read_b32 v1, v5
	ds_read_b32 v3, v15
	s_waitcnt lgkmcnt(0)
	v_cmp_eq_u32_e64 s[0:1], v1, v3
	v_mov_b32_e32 v1, 0
	s_and_saveexec_b64 s[26:27], s[0:1]
; %bb.32:                               ;   in Loop: Header=BB35_8 Depth=1
	ds_read_b32 v1, v16
; %bb.33:                               ;   in Loop: Header=BB35_8 Depth=1
	s_or_b64 exec, exec, s[26:27]
.LBB35_34:                              ;   in Loop: Header=BB35_8 Depth=1
	;; [unrolled: 48-line block ×3, first 2 shown]
	s_or_b64 exec, exec, s[2:3]
	s_waitcnt lgkmcnt(0)
	s_barrier
	ds_read_b32 v3, v6
	s_waitcnt lgkmcnt(0)
	v_add_u32_e32 v1, v3, v1
	ds_write_b32 v6, v1
	s_waitcnt lgkmcnt(0)
	s_barrier
	ds_read_b32 v1, v5
	v_mov_b32_e32 v3, -1
	s_and_saveexec_b64 s[0:1], vcc
; %bb.43:                               ;   in Loop: Header=BB35_8 Depth=1
	ds_read_b32 v3, v5 offset:4
; %bb.44:                               ;   in Loop: Header=BB35_8 Depth=1
	s_or_b64 exec, exec, s[0:1]
	s_waitcnt lgkmcnt(0)
	v_cmp_ne_u32_e64 s[0:1], v1, v3
	v_cmp_lt_i32_e64 s[2:3], -1, v1
	s_and_b64 s[0:1], s[2:3], s[0:1]
	s_and_saveexec_b64 s[2:3], s[0:1]
	s_cbranch_execz .LBB35_7
; %bb.45:                               ;   in Loop: Header=BB35_8 Depth=1
	v_lshlrev_b64 v[3:4], 2, v[1:2]
	v_mov_b32_e32 v1, s7
	v_add_co_u32_e64 v3, s[0:1], s6, v3
	v_addc_co_u32_e64 v4, s[0:1], v1, v4, s[0:1]
	global_load_dword v1, v[3:4], off
	ds_read_b32 v21, v6
	s_waitcnt vmcnt(0) lgkmcnt(0)
	v_add_u32_e32 v1, v21, v1
	global_store_dword v[3:4], v1, off
	s_branch .LBB35_7
.LBB35_46:
	s_endpgm
	.section	.rodata,"a",@progbits
	.p2align	6, 0x0
	.amdhsa_kernel _ZN9rocsparseL29coomvn_segmented_loops_reduceILj256EiiiEEvT0_NS_24const_host_device_scalarIT2_EEPKS1_PKS3_PT1_b
		.amdhsa_group_segment_fixed_size 2048
		.amdhsa_private_segment_fixed_size 0
		.amdhsa_kernarg_size 44
		.amdhsa_user_sgpr_count 6
		.amdhsa_user_sgpr_private_segment_buffer 1
		.amdhsa_user_sgpr_dispatch_ptr 0
		.amdhsa_user_sgpr_queue_ptr 0
		.amdhsa_user_sgpr_kernarg_segment_ptr 1
		.amdhsa_user_sgpr_dispatch_id 0
		.amdhsa_user_sgpr_flat_scratch_init 0
		.amdhsa_user_sgpr_private_segment_size 0
		.amdhsa_uses_dynamic_stack 0
		.amdhsa_system_sgpr_private_segment_wavefront_offset 0
		.amdhsa_system_sgpr_workgroup_id_x 1
		.amdhsa_system_sgpr_workgroup_id_y 0
		.amdhsa_system_sgpr_workgroup_id_z 0
		.amdhsa_system_sgpr_workgroup_info 0
		.amdhsa_system_vgpr_workitem_id 0
		.amdhsa_next_free_vgpr 25
		.amdhsa_next_free_sgpr 30
		.amdhsa_reserve_vcc 1
		.amdhsa_reserve_flat_scratch 0
		.amdhsa_float_round_mode_32 0
		.amdhsa_float_round_mode_16_64 0
		.amdhsa_float_denorm_mode_32 3
		.amdhsa_float_denorm_mode_16_64 3
		.amdhsa_dx10_clamp 1
		.amdhsa_ieee_mode 1
		.amdhsa_fp16_overflow 0
		.amdhsa_exception_fp_ieee_invalid_op 0
		.amdhsa_exception_fp_denorm_src 0
		.amdhsa_exception_fp_ieee_div_zero 0
		.amdhsa_exception_fp_ieee_overflow 0
		.amdhsa_exception_fp_ieee_underflow 0
		.amdhsa_exception_fp_ieee_inexact 0
		.amdhsa_exception_int_div_zero 0
	.end_amdhsa_kernel
	.section	.text._ZN9rocsparseL29coomvn_segmented_loops_reduceILj256EiiiEEvT0_NS_24const_host_device_scalarIT2_EEPKS1_PKS3_PT1_b,"axG",@progbits,_ZN9rocsparseL29coomvn_segmented_loops_reduceILj256EiiiEEvT0_NS_24const_host_device_scalarIT2_EEPKS1_PKS3_PT1_b,comdat
.Lfunc_end35:
	.size	_ZN9rocsparseL29coomvn_segmented_loops_reduceILj256EiiiEEvT0_NS_24const_host_device_scalarIT2_EEPKS1_PKS3_PT1_b, .Lfunc_end35-_ZN9rocsparseL29coomvn_segmented_loops_reduceILj256EiiiEEvT0_NS_24const_host_device_scalarIT2_EEPKS1_PKS3_PT1_b
                                        ; -- End function
	.set _ZN9rocsparseL29coomvn_segmented_loops_reduceILj256EiiiEEvT0_NS_24const_host_device_scalarIT2_EEPKS1_PKS3_PT1_b.num_vgpr, 25
	.set _ZN9rocsparseL29coomvn_segmented_loops_reduceILj256EiiiEEvT0_NS_24const_host_device_scalarIT2_EEPKS1_PKS3_PT1_b.num_agpr, 0
	.set _ZN9rocsparseL29coomvn_segmented_loops_reduceILj256EiiiEEvT0_NS_24const_host_device_scalarIT2_EEPKS1_PKS3_PT1_b.numbered_sgpr, 30
	.set _ZN9rocsparseL29coomvn_segmented_loops_reduceILj256EiiiEEvT0_NS_24const_host_device_scalarIT2_EEPKS1_PKS3_PT1_b.num_named_barrier, 0
	.set _ZN9rocsparseL29coomvn_segmented_loops_reduceILj256EiiiEEvT0_NS_24const_host_device_scalarIT2_EEPKS1_PKS3_PT1_b.private_seg_size, 0
	.set _ZN9rocsparseL29coomvn_segmented_loops_reduceILj256EiiiEEvT0_NS_24const_host_device_scalarIT2_EEPKS1_PKS3_PT1_b.uses_vcc, 1
	.set _ZN9rocsparseL29coomvn_segmented_loops_reduceILj256EiiiEEvT0_NS_24const_host_device_scalarIT2_EEPKS1_PKS3_PT1_b.uses_flat_scratch, 0
	.set _ZN9rocsparseL29coomvn_segmented_loops_reduceILj256EiiiEEvT0_NS_24const_host_device_scalarIT2_EEPKS1_PKS3_PT1_b.has_dyn_sized_stack, 0
	.set _ZN9rocsparseL29coomvn_segmented_loops_reduceILj256EiiiEEvT0_NS_24const_host_device_scalarIT2_EEPKS1_PKS3_PT1_b.has_recursion, 0
	.set _ZN9rocsparseL29coomvn_segmented_loops_reduceILj256EiiiEEvT0_NS_24const_host_device_scalarIT2_EEPKS1_PKS3_PT1_b.has_indirect_call, 0
	.section	.AMDGPU.csdata,"",@progbits
; Kernel info:
; codeLenInByte = 1428
; TotalNumSgprs: 34
; NumVgprs: 25
; ScratchSize: 0
; MemoryBound: 0
; FloatMode: 240
; IeeeMode: 1
; LDSByteSize: 2048 bytes/workgroup (compile time only)
; SGPRBlocks: 4
; VGPRBlocks: 6
; NumSGPRsForWavesPerEU: 34
; NumVGPRsForWavesPerEU: 25
; Occupancy: 9
; WaveLimiterHint : 0
; COMPUTE_PGM_RSRC2:SCRATCH_EN: 0
; COMPUTE_PGM_RSRC2:USER_SGPR: 6
; COMPUTE_PGM_RSRC2:TRAP_HANDLER: 0
; COMPUTE_PGM_RSRC2:TGID_X_EN: 1
; COMPUTE_PGM_RSRC2:TGID_Y_EN: 0
; COMPUTE_PGM_RSRC2:TGID_Z_EN: 0
; COMPUTE_PGM_RSRC2:TIDIG_COMP_CNT: 0
	.section	.text._ZN9rocsparseL23coomvn_aos_atomic_loopsILj256ELj1ElaaiiEEvlNS_24const_host_device_scalarIT5_EEPKT1_PKT2_PKT3_PT4_21rocsparse_index_base_b,"axG",@progbits,_ZN9rocsparseL23coomvn_aos_atomic_loopsILj256ELj1ElaaiiEEvlNS_24const_host_device_scalarIT5_EEPKT1_PKT2_PKT3_PT4_21rocsparse_index_base_b,comdat
	.globl	_ZN9rocsparseL23coomvn_aos_atomic_loopsILj256ELj1ElaaiiEEvlNS_24const_host_device_scalarIT5_EEPKT1_PKT2_PKT3_PT4_21rocsparse_index_base_b ; -- Begin function _ZN9rocsparseL23coomvn_aos_atomic_loopsILj256ELj1ElaaiiEEvlNS_24const_host_device_scalarIT5_EEPKT1_PKT2_PKT3_PT4_21rocsparse_index_base_b
	.p2align	8
	.type	_ZN9rocsparseL23coomvn_aos_atomic_loopsILj256ELj1ElaaiiEEvlNS_24const_host_device_scalarIT5_EEPKT1_PKT2_PKT3_PT4_21rocsparse_index_base_b,@function
_ZN9rocsparseL23coomvn_aos_atomic_loopsILj256ELj1ElaaiiEEvlNS_24const_host_device_scalarIT5_EEPKT1_PKT2_PKT3_PT4_21rocsparse_index_base_b: ; @_ZN9rocsparseL23coomvn_aos_atomic_loopsILj256ELj1ElaaiiEEvlNS_24const_host_device_scalarIT5_EEPKT1_PKT2_PKT3_PT4_21rocsparse_index_base_b
; %bb.0:
	s_load_dwordx2 s[8:9], s[4:5], 0x30
	s_load_dwordx4 s[0:3], s[4:5], 0x0
	s_waitcnt lgkmcnt(0)
	s_bitcmp0_b32 s9, 0
	s_cbranch_scc0 .LBB36_2
; %bb.1:
	s_load_dword s7, s[2:3], 0x0
	s_cbranch_execz .LBB36_3
	s_branch .LBB36_4
.LBB36_2:
                                        ; implicit-def: $sgpr7
.LBB36_3:
	s_waitcnt lgkmcnt(0)
	s_mov_b32 s7, s2
.LBB36_4:
	s_waitcnt lgkmcnt(0)
	s_cmp_eq_u32 s7, 0
	s_cbranch_scc1 .LBB36_44
; %bb.5:
	v_lshl_or_b32 v1, s6, 8, v0
	v_mov_b32_e32 v2, 0
	v_cmp_gt_i64_e32 vcc, s[0:1], v[1:2]
	v_mov_b32_e32 v3, -1
	v_mov_b32_e32 v4, -1
	s_and_saveexec_b64 s[0:1], vcc
	s_cbranch_execz .LBB36_7
; %bb.6:
	s_load_dwordx4 s[12:15], s[4:5], 0x10
	s_load_dwordx2 s[2:3], s[4:5], 0x20
	v_lshlrev_b64 v[2:3], 4, v[1:2]
	s_waitcnt lgkmcnt(0)
	v_mov_b32_e32 v4, s13
	v_add_co_u32_e32 v2, vcc, s12, v2
	v_addc_co_u32_e32 v3, vcc, v4, v3, vcc
	global_load_dwordx4 v[3:6], v[2:3], off glc slc
	v_mov_b32_e32 v2, s15
	v_add_co_u32_e32 v1, vcc, s14, v1
	v_addc_co_u32_e32 v2, vcc, 0, v2, vcc
	global_load_sbyte v8, v[1:2], off glc slc
	v_mov_b32_e32 v7, s3
	s_waitcnt vmcnt(1)
	v_subrev_co_u32_e32 v1, vcc, s8, v5
	v_subbrev_co_u32_e32 v2, vcc, 0, v6, vcc
	v_add_co_u32_e32 v1, vcc, s2, v1
	v_addc_co_u32_e32 v2, vcc, v7, v2, vcc
	global_load_sbyte v1, v[1:2], off
	v_subrev_co_u32_e32 v3, vcc, s8, v3
	v_subbrev_co_u32_e32 v4, vcc, 0, v4, vcc
	s_waitcnt vmcnt(0)
	v_mul_i32_i24_e32 v2, v1, v8
.LBB36_7:
	s_or_b64 exec, exec, s[0:1]
	v_lshlrev_b32_e32 v6, 2, v0
	v_lshlrev_b32_e32 v1, 3, v0
	v_or_b32_e32 v5, 0x800, v6
	v_cmp_ne_u32_e32 vcc, 0, v0
	ds_write_b64 v1, v[3:4]
	ds_write_b32 v6, v2 offset:2048
	s_waitcnt lgkmcnt(0)
	s_barrier
	s_and_saveexec_b64 s[0:1], vcc
	s_cbranch_execz .LBB36_11
; %bb.8:
	v_add_u32_e32 v6, -8, v1
	ds_read_b64 v[6:7], v6
	s_waitcnt lgkmcnt(0)
	v_cmp_eq_u64_e32 vcc, v[3:4], v[6:7]
	s_and_saveexec_b64 s[2:3], vcc
	s_cbranch_execz .LBB36_10
; %bb.9:
	v_add_u32_e32 v6, -4, v5
	ds_read_b32 v6, v6
	s_waitcnt lgkmcnt(0)
	v_add_u32_e32 v2, v6, v2
.LBB36_10:
	s_or_b64 exec, exec, s[2:3]
.LBB36_11:
	s_or_b64 exec, exec, s[0:1]
	v_cmp_lt_u32_e32 vcc, 1, v0
	s_barrier
	ds_write_b32 v5, v2
	s_waitcnt lgkmcnt(0)
	s_barrier
	s_and_saveexec_b64 s[0:1], vcc
	s_cbranch_execz .LBB36_15
; %bb.12:
	v_add_u32_e32 v6, -16, v1
	ds_read_b64 v[6:7], v6
	s_waitcnt lgkmcnt(0)
	v_cmp_eq_u64_e32 vcc, v[3:4], v[6:7]
	s_and_saveexec_b64 s[2:3], vcc
	s_cbranch_execz .LBB36_14
; %bb.13:
	v_add_u32_e32 v6, -8, v5
	ds_read_b32 v6, v6
	s_waitcnt lgkmcnt(0)
	v_add_u32_e32 v2, v6, v2
.LBB36_14:
	s_or_b64 exec, exec, s[2:3]
.LBB36_15:
	s_or_b64 exec, exec, s[0:1]
	v_cmp_lt_u32_e32 vcc, 3, v0
	s_barrier
	ds_write_b32 v5, v2
	s_waitcnt lgkmcnt(0)
	s_barrier
	s_and_saveexec_b64 s[0:1], vcc
	s_cbranch_execz .LBB36_19
; %bb.16:
	v_subrev_u32_e32 v6, 32, v1
	ds_read_b64 v[6:7], v6
	s_waitcnt lgkmcnt(0)
	v_cmp_eq_u64_e32 vcc, v[3:4], v[6:7]
	s_and_saveexec_b64 s[2:3], vcc
	s_cbranch_execz .LBB36_18
; %bb.17:
	v_add_u32_e32 v6, -16, v5
	ds_read_b32 v6, v6
	s_waitcnt lgkmcnt(0)
	v_add_u32_e32 v2, v6, v2
.LBB36_18:
	s_or_b64 exec, exec, s[2:3]
.LBB36_19:
	s_or_b64 exec, exec, s[0:1]
	v_cmp_lt_u32_e32 vcc, 7, v0
	s_barrier
	ds_write_b32 v5, v2
	s_waitcnt lgkmcnt(0)
	s_barrier
	s_and_saveexec_b64 s[0:1], vcc
	s_cbranch_execz .LBB36_23
; %bb.20:
	v_subrev_u32_e32 v6, 64, v1
	ds_read_b64 v[6:7], v6
	s_waitcnt lgkmcnt(0)
	v_cmp_eq_u64_e32 vcc, v[3:4], v[6:7]
	s_and_saveexec_b64 s[2:3], vcc
	s_cbranch_execz .LBB36_22
; %bb.21:
	v_subrev_u32_e32 v6, 32, v5
	ds_read_b32 v6, v6
	s_waitcnt lgkmcnt(0)
	v_add_u32_e32 v2, v6, v2
.LBB36_22:
	s_or_b64 exec, exec, s[2:3]
.LBB36_23:
	s_or_b64 exec, exec, s[0:1]
	v_cmp_lt_u32_e32 vcc, 15, v0
	s_barrier
	ds_write_b32 v5, v2
	s_waitcnt lgkmcnt(0)
	s_barrier
	s_and_saveexec_b64 s[0:1], vcc
	s_cbranch_execz .LBB36_27
; %bb.24:
	v_add_u32_e32 v6, 0xffffff80, v1
	ds_read_b64 v[6:7], v6
	s_waitcnt lgkmcnt(0)
	v_cmp_eq_u64_e32 vcc, v[3:4], v[6:7]
	s_and_saveexec_b64 s[2:3], vcc
	s_cbranch_execz .LBB36_26
; %bb.25:
	v_subrev_u32_e32 v6, 64, v5
	ds_read_b32 v6, v6
	s_waitcnt lgkmcnt(0)
	v_add_u32_e32 v2, v6, v2
.LBB36_26:
	s_or_b64 exec, exec, s[2:3]
.LBB36_27:
	s_or_b64 exec, exec, s[0:1]
	v_cmp_lt_u32_e32 vcc, 31, v0
	s_barrier
	ds_write_b32 v5, v2
	s_waitcnt lgkmcnt(0)
	s_barrier
	s_and_saveexec_b64 s[0:1], vcc
	s_cbranch_execz .LBB36_31
; %bb.28:
	v_add_u32_e32 v6, 0xffffff00, v1
	ds_read_b64 v[6:7], v6
	s_waitcnt lgkmcnt(0)
	v_cmp_eq_u64_e32 vcc, v[3:4], v[6:7]
	s_and_saveexec_b64 s[2:3], vcc
	s_cbranch_execz .LBB36_30
; %bb.29:
	v_add_u32_e32 v6, 0xffffff80, v5
	ds_read_b32 v6, v6
	s_waitcnt lgkmcnt(0)
	v_add_u32_e32 v2, v6, v2
.LBB36_30:
	s_or_b64 exec, exec, s[2:3]
.LBB36_31:
	s_or_b64 exec, exec, s[0:1]
	v_cmp_lt_u32_e32 vcc, 63, v0
	s_barrier
	ds_write_b32 v5, v2
	s_waitcnt lgkmcnt(0)
	s_barrier
	s_and_saveexec_b64 s[0:1], vcc
	s_cbranch_execz .LBB36_35
; %bb.32:
	v_add_u32_e32 v6, 0xfffffe00, v1
	ds_read_b64 v[6:7], v6
	s_waitcnt lgkmcnt(0)
	v_cmp_eq_u64_e32 vcc, v[3:4], v[6:7]
	s_and_saveexec_b64 s[2:3], vcc
	s_cbranch_execz .LBB36_34
; %bb.33:
	v_add_u32_e32 v6, 0xffffff00, v5
	ds_read_b32 v6, v6
	s_waitcnt lgkmcnt(0)
	v_add_u32_e32 v2, v6, v2
.LBB36_34:
	s_or_b64 exec, exec, s[2:3]
.LBB36_35:
	s_or_b64 exec, exec, s[0:1]
	s_load_dwordx2 s[2:3], s[4:5], 0x28
	s_movk_i32 s0, 0x7f
	v_cmp_lt_u32_e32 vcc, s0, v0
	s_waitcnt lgkmcnt(0)
	s_barrier
	ds_write_b32 v5, v2
	s_waitcnt lgkmcnt(0)
	s_barrier
	s_and_saveexec_b64 s[0:1], vcc
	s_cbranch_execz .LBB36_39
; %bb.36:
	v_add_u32_e32 v6, 0xfffffc00, v1
	ds_read_b64 v[6:7], v6
	s_waitcnt lgkmcnt(0)
	v_cmp_eq_u64_e32 vcc, v[3:4], v[6:7]
	s_and_saveexec_b64 s[4:5], vcc
	s_cbranch_execz .LBB36_38
; %bb.37:
	v_add_u32_e32 v6, 0xfffffe00, v5
	ds_read_b32 v6, v6
	s_waitcnt lgkmcnt(0)
	v_add_u32_e32 v2, v6, v2
.LBB36_38:
	s_or_b64 exec, exec, s[4:5]
.LBB36_39:
	s_or_b64 exec, exec, s[0:1]
	s_movk_i32 s6, 0xff
	v_cmp_gt_u32_e32 vcc, s6, v0
	s_barrier
	ds_write_b32 v5, v2
	s_waitcnt lgkmcnt(0)
	s_barrier
	s_and_saveexec_b64 s[4:5], vcc
	s_cbranch_execz .LBB36_42
; %bb.40:
	ds_read_b64 v[5:6], v1 offset:8
	v_cmp_lt_i64_e64 s[0:1], -1, v[3:4]
	s_waitcnt lgkmcnt(0)
	v_cmp_ne_u64_e32 vcc, v[3:4], v[5:6]
	s_and_b64 s[0:1], s[0:1], vcc
	s_and_b64 exec, exec, s[0:1]
	s_cbranch_execz .LBB36_42
; %bb.41:
	v_lshlrev_b64 v[5:6], 2, v[3:4]
	v_mul_lo_u32 v7, v2, s7
	v_mov_b32_e32 v1, s3
	v_add_co_u32_e32 v5, vcc, s2, v5
	v_addc_co_u32_e32 v6, vcc, v1, v6, vcc
	global_atomic_add v[5:6], v7, off
.LBB36_42:
	s_or_b64 exec, exec, s[4:5]
	v_cmp_lt_i64_e32 vcc, -1, v[3:4]
	v_cmp_eq_u32_e64 s[0:1], s6, v0
	s_and_b64 s[0:1], s[0:1], vcc
	s_and_saveexec_b64 s[4:5], s[0:1]
	s_cbranch_execz .LBB36_44
; %bb.43:
	v_lshlrev_b64 v[0:1], 2, v[3:4]
	v_mul_lo_u32 v2, v2, s7
	v_mov_b32_e32 v3, s3
	v_add_co_u32_e32 v0, vcc, s2, v0
	v_addc_co_u32_e32 v1, vcc, v3, v1, vcc
	global_atomic_add v[0:1], v2, off
.LBB36_44:
	s_endpgm
	.section	.rodata,"a",@progbits
	.p2align	6, 0x0
	.amdhsa_kernel _ZN9rocsparseL23coomvn_aos_atomic_loopsILj256ELj1ElaaiiEEvlNS_24const_host_device_scalarIT5_EEPKT1_PKT2_PKT3_PT4_21rocsparse_index_base_b
		.amdhsa_group_segment_fixed_size 3072
		.amdhsa_private_segment_fixed_size 0
		.amdhsa_kernarg_size 56
		.amdhsa_user_sgpr_count 6
		.amdhsa_user_sgpr_private_segment_buffer 1
		.amdhsa_user_sgpr_dispatch_ptr 0
		.amdhsa_user_sgpr_queue_ptr 0
		.amdhsa_user_sgpr_kernarg_segment_ptr 1
		.amdhsa_user_sgpr_dispatch_id 0
		.amdhsa_user_sgpr_flat_scratch_init 0
		.amdhsa_user_sgpr_private_segment_size 0
		.amdhsa_uses_dynamic_stack 0
		.amdhsa_system_sgpr_private_segment_wavefront_offset 0
		.amdhsa_system_sgpr_workgroup_id_x 1
		.amdhsa_system_sgpr_workgroup_id_y 0
		.amdhsa_system_sgpr_workgroup_id_z 0
		.amdhsa_system_sgpr_workgroup_info 0
		.amdhsa_system_vgpr_workitem_id 0
		.amdhsa_next_free_vgpr 9
		.amdhsa_next_free_sgpr 16
		.amdhsa_reserve_vcc 1
		.amdhsa_reserve_flat_scratch 0
		.amdhsa_float_round_mode_32 0
		.amdhsa_float_round_mode_16_64 0
		.amdhsa_float_denorm_mode_32 3
		.amdhsa_float_denorm_mode_16_64 3
		.amdhsa_dx10_clamp 1
		.amdhsa_ieee_mode 1
		.amdhsa_fp16_overflow 0
		.amdhsa_exception_fp_ieee_invalid_op 0
		.amdhsa_exception_fp_denorm_src 0
		.amdhsa_exception_fp_ieee_div_zero 0
		.amdhsa_exception_fp_ieee_overflow 0
		.amdhsa_exception_fp_ieee_underflow 0
		.amdhsa_exception_fp_ieee_inexact 0
		.amdhsa_exception_int_div_zero 0
	.end_amdhsa_kernel
	.section	.text._ZN9rocsparseL23coomvn_aos_atomic_loopsILj256ELj1ElaaiiEEvlNS_24const_host_device_scalarIT5_EEPKT1_PKT2_PKT3_PT4_21rocsparse_index_base_b,"axG",@progbits,_ZN9rocsparseL23coomvn_aos_atomic_loopsILj256ELj1ElaaiiEEvlNS_24const_host_device_scalarIT5_EEPKT1_PKT2_PKT3_PT4_21rocsparse_index_base_b,comdat
.Lfunc_end36:
	.size	_ZN9rocsparseL23coomvn_aos_atomic_loopsILj256ELj1ElaaiiEEvlNS_24const_host_device_scalarIT5_EEPKT1_PKT2_PKT3_PT4_21rocsparse_index_base_b, .Lfunc_end36-_ZN9rocsparseL23coomvn_aos_atomic_loopsILj256ELj1ElaaiiEEvlNS_24const_host_device_scalarIT5_EEPKT1_PKT2_PKT3_PT4_21rocsparse_index_base_b
                                        ; -- End function
	.set _ZN9rocsparseL23coomvn_aos_atomic_loopsILj256ELj1ElaaiiEEvlNS_24const_host_device_scalarIT5_EEPKT1_PKT2_PKT3_PT4_21rocsparse_index_base_b.num_vgpr, 9
	.set _ZN9rocsparseL23coomvn_aos_atomic_loopsILj256ELj1ElaaiiEEvlNS_24const_host_device_scalarIT5_EEPKT1_PKT2_PKT3_PT4_21rocsparse_index_base_b.num_agpr, 0
	.set _ZN9rocsparseL23coomvn_aos_atomic_loopsILj256ELj1ElaaiiEEvlNS_24const_host_device_scalarIT5_EEPKT1_PKT2_PKT3_PT4_21rocsparse_index_base_b.numbered_sgpr, 16
	.set _ZN9rocsparseL23coomvn_aos_atomic_loopsILj256ELj1ElaaiiEEvlNS_24const_host_device_scalarIT5_EEPKT1_PKT2_PKT3_PT4_21rocsparse_index_base_b.num_named_barrier, 0
	.set _ZN9rocsparseL23coomvn_aos_atomic_loopsILj256ELj1ElaaiiEEvlNS_24const_host_device_scalarIT5_EEPKT1_PKT2_PKT3_PT4_21rocsparse_index_base_b.private_seg_size, 0
	.set _ZN9rocsparseL23coomvn_aos_atomic_loopsILj256ELj1ElaaiiEEvlNS_24const_host_device_scalarIT5_EEPKT1_PKT2_PKT3_PT4_21rocsparse_index_base_b.uses_vcc, 1
	.set _ZN9rocsparseL23coomvn_aos_atomic_loopsILj256ELj1ElaaiiEEvlNS_24const_host_device_scalarIT5_EEPKT1_PKT2_PKT3_PT4_21rocsparse_index_base_b.uses_flat_scratch, 0
	.set _ZN9rocsparseL23coomvn_aos_atomic_loopsILj256ELj1ElaaiiEEvlNS_24const_host_device_scalarIT5_EEPKT1_PKT2_PKT3_PT4_21rocsparse_index_base_b.has_dyn_sized_stack, 0
	.set _ZN9rocsparseL23coomvn_aos_atomic_loopsILj256ELj1ElaaiiEEvlNS_24const_host_device_scalarIT5_EEPKT1_PKT2_PKT3_PT4_21rocsparse_index_base_b.has_recursion, 0
	.set _ZN9rocsparseL23coomvn_aos_atomic_loopsILj256ELj1ElaaiiEEvlNS_24const_host_device_scalarIT5_EEPKT1_PKT2_PKT3_PT4_21rocsparse_index_base_b.has_indirect_call, 0
	.section	.AMDGPU.csdata,"",@progbits
; Kernel info:
; codeLenInByte = 1160
; TotalNumSgprs: 20
; NumVgprs: 9
; ScratchSize: 0
; MemoryBound: 0
; FloatMode: 240
; IeeeMode: 1
; LDSByteSize: 3072 bytes/workgroup (compile time only)
; SGPRBlocks: 2
; VGPRBlocks: 2
; NumSGPRsForWavesPerEU: 20
; NumVGPRsForWavesPerEU: 9
; Occupancy: 10
; WaveLimiterHint : 1
; COMPUTE_PGM_RSRC2:SCRATCH_EN: 0
; COMPUTE_PGM_RSRC2:USER_SGPR: 6
; COMPUTE_PGM_RSRC2:TRAP_HANDLER: 0
; COMPUTE_PGM_RSRC2:TGID_X_EN: 1
; COMPUTE_PGM_RSRC2:TGID_Y_EN: 0
; COMPUTE_PGM_RSRC2:TGID_Z_EN: 0
; COMPUTE_PGM_RSRC2:TIDIG_COMP_CNT: 0
	.section	.text._ZN9rocsparseL17coomvt_aos_kernelILj1024ElaaiiEEv20rocsparse_operation_lNS_24const_host_device_scalarIT4_EEPKT0_PKT1_PKT2_PT3_21rocsparse_index_base_b,"axG",@progbits,_ZN9rocsparseL17coomvt_aos_kernelILj1024ElaaiiEEv20rocsparse_operation_lNS_24const_host_device_scalarIT4_EEPKT0_PKT1_PKT2_PT3_21rocsparse_index_base_b,comdat
	.globl	_ZN9rocsparseL17coomvt_aos_kernelILj1024ElaaiiEEv20rocsparse_operation_lNS_24const_host_device_scalarIT4_EEPKT0_PKT1_PKT2_PT3_21rocsparse_index_base_b ; -- Begin function _ZN9rocsparseL17coomvt_aos_kernelILj1024ElaaiiEEv20rocsparse_operation_lNS_24const_host_device_scalarIT4_EEPKT0_PKT1_PKT2_PT3_21rocsparse_index_base_b
	.p2align	8
	.type	_ZN9rocsparseL17coomvt_aos_kernelILj1024ElaaiiEEv20rocsparse_operation_lNS_24const_host_device_scalarIT4_EEPKT0_PKT1_PKT2_PT3_21rocsparse_index_base_b,@function
_ZN9rocsparseL17coomvt_aos_kernelILj1024ElaaiiEEv20rocsparse_operation_lNS_24const_host_device_scalarIT4_EEPKT0_PKT1_PKT2_PT3_21rocsparse_index_base_b: ; @_ZN9rocsparseL17coomvt_aos_kernelILj1024ElaaiiEEv20rocsparse_operation_lNS_24const_host_device_scalarIT4_EEPKT0_PKT1_PKT2_PT3_21rocsparse_index_base_b
; %bb.0:
	s_load_dwordx2 s[16:17], s[4:5], 0x38
	s_load_dwordx4 s[0:3], s[4:5], 0x8
	s_waitcnt lgkmcnt(0)
	s_bitcmp0_b32 s17, 0
	s_cbranch_scc0 .LBB37_2
; %bb.1:
	s_load_dword s3, s[2:3], 0x0
	s_cbranch_execz .LBB37_3
	s_branch .LBB37_4
.LBB37_2:
                                        ; implicit-def: $sgpr3
.LBB37_3:
	s_waitcnt lgkmcnt(0)
	s_mov_b32 s3, s2
.LBB37_4:
	s_waitcnt lgkmcnt(0)
	s_cmp_eq_u32 s3, 0
	s_cbranch_scc1 .LBB37_7
; %bb.5:
	s_load_dword s2, s[4:5], 0x4c
	v_mov_b32_e32 v1, 0
	s_waitcnt lgkmcnt(0)
	s_and_b32 s2, s2, 0xffff
	s_mul_i32 s6, s6, s2
	v_add_u32_e32 v0, s6, v0
	v_cmp_gt_i64_e32 vcc, s[0:1], v[0:1]
	s_and_saveexec_b64 s[0:1], vcc
	s_cbranch_execz .LBB37_7
; %bb.6:
	s_load_dwordx8 s[8:15], s[4:5], 0x18
	v_lshlrev_b64 v[1:2], 4, v[0:1]
	s_waitcnt lgkmcnt(0)
	v_mov_b32_e32 v3, s9
	v_add_co_u32_e32 v1, vcc, s8, v1
	v_addc_co_u32_e32 v2, vcc, v3, v2, vcc
	global_load_dwordx4 v[1:4], v[1:2], off
	v_mov_b32_e32 v6, s11
	v_add_co_u32_e32 v5, vcc, s10, v0
	v_addc_co_u32_e32 v6, vcc, 0, v6, vcc
	global_load_sbyte v5, v[5:6], off
	v_mov_b32_e32 v7, s13
	v_mov_b32_e32 v6, s15
	s_waitcnt vmcnt(1)
	v_subrev_co_u32_e32 v0, vcc, s16, v1
	v_subbrev_co_u32_e32 v1, vcc, 0, v2, vcc
	v_add_co_u32_e32 v0, vcc, s12, v0
	v_addc_co_u32_e32 v1, vcc, v7, v1, vcc
	global_load_sbyte v2, v[0:1], off
	s_waitcnt vmcnt(1)
	v_mul_lo_u32 v5, s3, v5
	v_subrev_co_u32_e32 v0, vcc, s16, v3
	v_subbrev_co_u32_e32 v1, vcc, 0, v4, vcc
	v_lshlrev_b64 v[0:1], 2, v[0:1]
	v_add_co_u32_e32 v0, vcc, s14, v0
	v_addc_co_u32_e32 v1, vcc, v6, v1, vcc
	s_waitcnt vmcnt(0)
	v_mul_lo_u32 v2, v5, v2
	global_atomic_add v[0:1], v2, off
.LBB37_7:
	s_endpgm
	.section	.rodata,"a",@progbits
	.p2align	6, 0x0
	.amdhsa_kernel _ZN9rocsparseL17coomvt_aos_kernelILj1024ElaaiiEEv20rocsparse_operation_lNS_24const_host_device_scalarIT4_EEPKT0_PKT1_PKT2_PT3_21rocsparse_index_base_b
		.amdhsa_group_segment_fixed_size 0
		.amdhsa_private_segment_fixed_size 0
		.amdhsa_kernarg_size 320
		.amdhsa_user_sgpr_count 6
		.amdhsa_user_sgpr_private_segment_buffer 1
		.amdhsa_user_sgpr_dispatch_ptr 0
		.amdhsa_user_sgpr_queue_ptr 0
		.amdhsa_user_sgpr_kernarg_segment_ptr 1
		.amdhsa_user_sgpr_dispatch_id 0
		.amdhsa_user_sgpr_flat_scratch_init 0
		.amdhsa_user_sgpr_private_segment_size 0
		.amdhsa_uses_dynamic_stack 0
		.amdhsa_system_sgpr_private_segment_wavefront_offset 0
		.amdhsa_system_sgpr_workgroup_id_x 1
		.amdhsa_system_sgpr_workgroup_id_y 0
		.amdhsa_system_sgpr_workgroup_id_z 0
		.amdhsa_system_sgpr_workgroup_info 0
		.amdhsa_system_vgpr_workitem_id 0
		.amdhsa_next_free_vgpr 8
		.amdhsa_next_free_sgpr 18
		.amdhsa_reserve_vcc 1
		.amdhsa_reserve_flat_scratch 0
		.amdhsa_float_round_mode_32 0
		.amdhsa_float_round_mode_16_64 0
		.amdhsa_float_denorm_mode_32 3
		.amdhsa_float_denorm_mode_16_64 3
		.amdhsa_dx10_clamp 1
		.amdhsa_ieee_mode 1
		.amdhsa_fp16_overflow 0
		.amdhsa_exception_fp_ieee_invalid_op 0
		.amdhsa_exception_fp_denorm_src 0
		.amdhsa_exception_fp_ieee_div_zero 0
		.amdhsa_exception_fp_ieee_overflow 0
		.amdhsa_exception_fp_ieee_underflow 0
		.amdhsa_exception_fp_ieee_inexact 0
		.amdhsa_exception_int_div_zero 0
	.end_amdhsa_kernel
	.section	.text._ZN9rocsparseL17coomvt_aos_kernelILj1024ElaaiiEEv20rocsparse_operation_lNS_24const_host_device_scalarIT4_EEPKT0_PKT1_PKT2_PT3_21rocsparse_index_base_b,"axG",@progbits,_ZN9rocsparseL17coomvt_aos_kernelILj1024ElaaiiEEv20rocsparse_operation_lNS_24const_host_device_scalarIT4_EEPKT0_PKT1_PKT2_PT3_21rocsparse_index_base_b,comdat
.Lfunc_end37:
	.size	_ZN9rocsparseL17coomvt_aos_kernelILj1024ElaaiiEEv20rocsparse_operation_lNS_24const_host_device_scalarIT4_EEPKT0_PKT1_PKT2_PT3_21rocsparse_index_base_b, .Lfunc_end37-_ZN9rocsparseL17coomvt_aos_kernelILj1024ElaaiiEEv20rocsparse_operation_lNS_24const_host_device_scalarIT4_EEPKT0_PKT1_PKT2_PT3_21rocsparse_index_base_b
                                        ; -- End function
	.set _ZN9rocsparseL17coomvt_aos_kernelILj1024ElaaiiEEv20rocsparse_operation_lNS_24const_host_device_scalarIT4_EEPKT0_PKT1_PKT2_PT3_21rocsparse_index_base_b.num_vgpr, 8
	.set _ZN9rocsparseL17coomvt_aos_kernelILj1024ElaaiiEEv20rocsparse_operation_lNS_24const_host_device_scalarIT4_EEPKT0_PKT1_PKT2_PT3_21rocsparse_index_base_b.num_agpr, 0
	.set _ZN9rocsparseL17coomvt_aos_kernelILj1024ElaaiiEEv20rocsparse_operation_lNS_24const_host_device_scalarIT4_EEPKT0_PKT1_PKT2_PT3_21rocsparse_index_base_b.numbered_sgpr, 18
	.set _ZN9rocsparseL17coomvt_aos_kernelILj1024ElaaiiEEv20rocsparse_operation_lNS_24const_host_device_scalarIT4_EEPKT0_PKT1_PKT2_PT3_21rocsparse_index_base_b.num_named_barrier, 0
	.set _ZN9rocsparseL17coomvt_aos_kernelILj1024ElaaiiEEv20rocsparse_operation_lNS_24const_host_device_scalarIT4_EEPKT0_PKT1_PKT2_PT3_21rocsparse_index_base_b.private_seg_size, 0
	.set _ZN9rocsparseL17coomvt_aos_kernelILj1024ElaaiiEEv20rocsparse_operation_lNS_24const_host_device_scalarIT4_EEPKT0_PKT1_PKT2_PT3_21rocsparse_index_base_b.uses_vcc, 1
	.set _ZN9rocsparseL17coomvt_aos_kernelILj1024ElaaiiEEv20rocsparse_operation_lNS_24const_host_device_scalarIT4_EEPKT0_PKT1_PKT2_PT3_21rocsparse_index_base_b.uses_flat_scratch, 0
	.set _ZN9rocsparseL17coomvt_aos_kernelILj1024ElaaiiEEv20rocsparse_operation_lNS_24const_host_device_scalarIT4_EEPKT0_PKT1_PKT2_PT3_21rocsparse_index_base_b.has_dyn_sized_stack, 0
	.set _ZN9rocsparseL17coomvt_aos_kernelILj1024ElaaiiEEv20rocsparse_operation_lNS_24const_host_device_scalarIT4_EEPKT0_PKT1_PKT2_PT3_21rocsparse_index_base_b.has_recursion, 0
	.set _ZN9rocsparseL17coomvt_aos_kernelILj1024ElaaiiEEv20rocsparse_operation_lNS_24const_host_device_scalarIT4_EEPKT0_PKT1_PKT2_PT3_21rocsparse_index_base_b.has_indirect_call, 0
	.section	.AMDGPU.csdata,"",@progbits
; Kernel info:
; codeLenInByte = 264
; TotalNumSgprs: 22
; NumVgprs: 8
; ScratchSize: 0
; MemoryBound: 0
; FloatMode: 240
; IeeeMode: 1
; LDSByteSize: 0 bytes/workgroup (compile time only)
; SGPRBlocks: 2
; VGPRBlocks: 1
; NumSGPRsForWavesPerEU: 22
; NumVGPRsForWavesPerEU: 8
; Occupancy: 10
; WaveLimiterHint : 1
; COMPUTE_PGM_RSRC2:SCRATCH_EN: 0
; COMPUTE_PGM_RSRC2:USER_SGPR: 6
; COMPUTE_PGM_RSRC2:TRAP_HANDLER: 0
; COMPUTE_PGM_RSRC2:TGID_X_EN: 1
; COMPUTE_PGM_RSRC2:TGID_Y_EN: 0
; COMPUTE_PGM_RSRC2:TGID_Z_EN: 0
; COMPUTE_PGM_RSRC2:TIDIG_COMP_CNT: 0
	.section	.text._ZN9rocsparseL26coomvn_aos_segmented_loopsILj256ElaaiiEEvlT0_NS_24const_host_device_scalarIT4_EEPKS1_PKT1_PKT2_PT3_PS1_PS3_21rocsparse_index_base_b,"axG",@progbits,_ZN9rocsparseL26coomvn_aos_segmented_loopsILj256ElaaiiEEvlT0_NS_24const_host_device_scalarIT4_EEPKS1_PKT1_PKT2_PT3_PS1_PS3_21rocsparse_index_base_b,comdat
	.globl	_ZN9rocsparseL26coomvn_aos_segmented_loopsILj256ElaaiiEEvlT0_NS_24const_host_device_scalarIT4_EEPKS1_PKT1_PKT2_PT3_PS1_PS3_21rocsparse_index_base_b ; -- Begin function _ZN9rocsparseL26coomvn_aos_segmented_loopsILj256ElaaiiEEvlT0_NS_24const_host_device_scalarIT4_EEPKS1_PKT1_PKT2_PT3_PS1_PS3_21rocsparse_index_base_b
	.p2align	8
	.type	_ZN9rocsparseL26coomvn_aos_segmented_loopsILj256ElaaiiEEvlT0_NS_24const_host_device_scalarIT4_EEPKS1_PKT1_PKT2_PT3_PS1_PS3_21rocsparse_index_base_b,@function
_ZN9rocsparseL26coomvn_aos_segmented_loopsILj256ElaaiiEEvlT0_NS_24const_host_device_scalarIT4_EEPKS1_PKT1_PKT2_PT3_PS1_PS3_21rocsparse_index_base_b: ; @_ZN9rocsparseL26coomvn_aos_segmented_loopsILj256ElaaiiEEvlT0_NS_24const_host_device_scalarIT4_EEPKS1_PKT1_PKT2_PT3_PS1_PS3_21rocsparse_index_base_b
; %bb.0:
	s_load_dwordx2 s[34:35], s[4:5], 0x48
	s_load_dwordx2 s[0:1], s[4:5], 0x10
	s_waitcnt lgkmcnt(0)
	s_bitcmp0_b32 s35, 0
	s_cbranch_scc0 .LBB38_2
; %bb.1:
	s_load_dword s33, s[0:1], 0x0
	s_cbranch_execz .LBB38_3
	s_branch .LBB38_4
.LBB38_2:
                                        ; implicit-def: $sgpr33
.LBB38_3:
	s_waitcnt lgkmcnt(0)
	s_mov_b32 s33, s0
.LBB38_4:
	s_waitcnt lgkmcnt(0)
	s_cmp_eq_u32 s33, 0
	s_mov_b32 s7, 0
	s_cbranch_scc1 .LBB38_91
; %bb.5:
	s_load_dwordx4 s[28:31], s[4:5], 0x0
	s_load_dwordx4 s[36:39], s[4:5], 0x18
	s_load_dwordx2 s[46:47], s[4:5], 0x28
	v_mov_b32_e32 v1, -1
	v_mov_b32_e32 v2, -1
	s_waitcnt lgkmcnt(0)
	s_mul_i32 s1, s6, s31
	s_mul_hi_u32 s2, s6, s30
	s_mul_i32 s0, s6, s30
	s_add_i32 s1, s2, s1
	s_lshl_b64 s[0:1], s[0:1], 8
	v_or_b32_e32 v3, s0, v0
	v_mov_b32_e32 v4, s1
	v_cmp_gt_i64_e32 vcc, s[28:29], v[3:4]
	v_mov_b32_e32 v13, 0
	s_and_saveexec_b64 s[0:1], vcc
	s_cbranch_execz .LBB38_7
; %bb.6:
	v_lshlrev_b64 v[1:2], 4, v[3:4]
	v_mov_b32_e32 v5, s37
	v_add_co_u32_e32 v1, vcc, s36, v1
	v_addc_co_u32_e32 v2, vcc, v5, v2, vcc
	global_load_dwordx4 v[5:8], v[1:2], off glc slc
	v_mov_b32_e32 v2, s39
	v_add_co_u32_e32 v1, vcc, s38, v3
	s_ashr_i32 s2, s34, 31
	v_addc_co_u32_e32 v2, vcc, v2, v4, vcc
	v_mov_b32_e32 v9, s47
	s_sub_u32 s3, 0, s34
	global_load_sbyte v10, v[1:2], off glc slc
	s_subb_u32 s2, 0, s2
	v_mov_b32_e32 v2, s2
	s_waitcnt vmcnt(1)
	v_add_co_u32_e32 v1, vcc, s46, v7
	v_addc_co_u32_e32 v7, vcc, v9, v8, vcc
	v_add_co_u32_e32 v1, vcc, s3, v1
	v_addc_co_u32_e32 v2, vcc, v7, v2, vcc
	global_load_sbyte v7, v[1:2], off
	v_subrev_co_u32_e32 v1, vcc, s34, v5
	v_subbrev_co_u32_e32 v2, vcc, 0, v6, vcc
	s_waitcnt vmcnt(0)
	v_mul_i32_i24_e32 v13, v7, v10
.LBB38_7:
	s_or_b64 exec, exec, s[0:1]
	v_lshlrev_b32_e32 v9, 3, v0
	v_lshlrev_b32_e32 v5, 2, v0
	v_or_b32_e32 v10, 0x800, v5
	v_cmp_eq_u32_e64 s[0:1], 0, v0
	v_cmp_ne_u32_e64 s[2:3], 0, v0
	v_add_u32_e32 v11, -8, v9
	ds_write_b64 v9, v[1:2]
	ds_write_b32 v5, v13 offset:2048
	s_waitcnt lgkmcnt(0)
	s_barrier
	s_and_saveexec_b64 s[8:9], s[2:3]
	s_cbranch_execz .LBB38_11
; %bb.8:
	ds_read_b64 v[5:6], v11
	s_waitcnt lgkmcnt(0)
	v_cmp_eq_u64_e32 vcc, v[1:2], v[5:6]
	s_and_saveexec_b64 s[10:11], vcc
	s_cbranch_execz .LBB38_10
; %bb.9:
	v_add_u32_e32 v5, -4, v10
	ds_read_b32 v5, v5
	s_waitcnt lgkmcnt(0)
	v_add_u32_e32 v13, v5, v13
.LBB38_10:
	s_or_b64 exec, exec, s[10:11]
.LBB38_11:
	s_or_b64 exec, exec, s[8:9]
	v_cmp_lt_u32_e64 s[22:23], 1, v0
	v_add_u32_e32 v12, -16, v9
	s_barrier
	ds_write_b32 v10, v13
	s_waitcnt lgkmcnt(0)
	s_barrier
	s_and_saveexec_b64 s[8:9], s[22:23]
	s_cbranch_execz .LBB38_15
; %bb.12:
	ds_read_b64 v[5:6], v12
	s_waitcnt lgkmcnt(0)
	v_cmp_eq_u64_e32 vcc, v[1:2], v[5:6]
	s_and_saveexec_b64 s[10:11], vcc
	s_cbranch_execz .LBB38_14
; %bb.13:
	v_add_u32_e32 v5, -8, v10
	ds_read_b32 v5, v5
	s_waitcnt lgkmcnt(0)
	v_add_u32_e32 v13, v5, v13
.LBB38_14:
	s_or_b64 exec, exec, s[10:11]
.LBB38_15:
	s_or_b64 exec, exec, s[8:9]
	v_cmp_lt_u32_e64 s[8:9], 3, v0
	v_subrev_u32_e32 v14, 32, v9
	s_barrier
	ds_write_b32 v10, v13
	s_waitcnt lgkmcnt(0)
	s_barrier
	s_and_saveexec_b64 s[10:11], s[8:9]
	s_cbranch_execz .LBB38_19
; %bb.16:
	ds_read_b64 v[5:6], v14
	s_waitcnt lgkmcnt(0)
	v_cmp_eq_u64_e32 vcc, v[1:2], v[5:6]
	s_and_saveexec_b64 s[12:13], vcc
	s_cbranch_execz .LBB38_18
; %bb.17:
	v_add_u32_e32 v5, -16, v10
	ds_read_b32 v5, v5
	s_waitcnt lgkmcnt(0)
	v_add_u32_e32 v13, v5, v13
.LBB38_18:
	s_or_b64 exec, exec, s[12:13]
.LBB38_19:
	s_or_b64 exec, exec, s[10:11]
	v_cmp_lt_u32_e64 s[10:11], 7, v0
	v_subrev_u32_e32 v15, 64, v9
	s_barrier
	ds_write_b32 v10, v13
	s_waitcnt lgkmcnt(0)
	s_barrier
	s_and_saveexec_b64 s[12:13], s[10:11]
	s_cbranch_execz .LBB38_23
; %bb.20:
	ds_read_b64 v[5:6], v15
	s_waitcnt lgkmcnt(0)
	v_cmp_eq_u64_e32 vcc, v[1:2], v[5:6]
	s_and_saveexec_b64 s[14:15], vcc
	s_cbranch_execz .LBB38_22
; %bb.21:
	v_subrev_u32_e32 v5, 32, v10
	ds_read_b32 v5, v5
	s_waitcnt lgkmcnt(0)
	v_add_u32_e32 v13, v5, v13
.LBB38_22:
	s_or_b64 exec, exec, s[14:15]
.LBB38_23:
	s_or_b64 exec, exec, s[12:13]
	v_cmp_lt_u32_e64 s[12:13], 15, v0
	s_barrier
	ds_write_b32 v10, v13
	s_waitcnt lgkmcnt(0)
	s_barrier
	s_and_saveexec_b64 s[14:15], s[12:13]
	s_cbranch_execz .LBB38_27
; %bb.24:
	v_add_u32_e32 v5, 0xffffff80, v9
	ds_read_b64 v[5:6], v5
	s_waitcnt lgkmcnt(0)
	v_cmp_eq_u64_e32 vcc, v[1:2], v[5:6]
	s_and_saveexec_b64 s[16:17], vcc
	s_cbranch_execz .LBB38_26
; %bb.25:
	v_subrev_u32_e32 v5, 64, v10
	ds_read_b32 v5, v5
	s_waitcnt lgkmcnt(0)
	v_add_u32_e32 v13, v5, v13
.LBB38_26:
	s_or_b64 exec, exec, s[16:17]
.LBB38_27:
	s_or_b64 exec, exec, s[14:15]
	v_cmp_lt_u32_e64 s[14:15], 31, v0
	s_barrier
	ds_write_b32 v10, v13
	s_waitcnt lgkmcnt(0)
	s_barrier
	s_and_saveexec_b64 s[16:17], s[14:15]
	s_cbranch_execz .LBB38_31
; %bb.28:
	v_add_u32_e32 v5, 0xffffff00, v9
	ds_read_b64 v[5:6], v5
	s_waitcnt lgkmcnt(0)
	v_cmp_eq_u64_e32 vcc, v[1:2], v[5:6]
	s_and_saveexec_b64 s[18:19], vcc
	s_cbranch_execz .LBB38_30
; %bb.29:
	v_add_u32_e32 v5, 0xffffff80, v10
	ds_read_b32 v5, v5
	s_waitcnt lgkmcnt(0)
	v_add_u32_e32 v13, v5, v13
.LBB38_30:
	s_or_b64 exec, exec, s[18:19]
.LBB38_31:
	s_or_b64 exec, exec, s[16:17]
	v_cmp_lt_u32_e64 s[16:17], 63, v0
	s_barrier
	ds_write_b32 v10, v13
	s_waitcnt lgkmcnt(0)
	s_barrier
	s_and_saveexec_b64 s[18:19], s[16:17]
	s_cbranch_execz .LBB38_35
; %bb.32:
	v_add_u32_e32 v5, 0xfffffe00, v9
	ds_read_b64 v[5:6], v5
	s_waitcnt lgkmcnt(0)
	v_cmp_eq_u64_e32 vcc, v[1:2], v[5:6]
	s_and_saveexec_b64 s[20:21], vcc
	s_cbranch_execz .LBB38_34
; %bb.33:
	v_add_u32_e32 v5, 0xffffff00, v10
	ds_read_b32 v5, v5
	s_waitcnt lgkmcnt(0)
	v_add_u32_e32 v13, v5, v13
.LBB38_34:
	s_or_b64 exec, exec, s[20:21]
.LBB38_35:
	s_or_b64 exec, exec, s[18:19]
	s_load_dwordx2 s[40:41], s[4:5], 0x30
	s_movk_i32 s18, 0x7f
	v_cmp_lt_u32_e64 s[18:19], s18, v0
	s_waitcnt lgkmcnt(0)
	s_barrier
	ds_write_b32 v10, v13
	s_waitcnt lgkmcnt(0)
	s_barrier
	s_and_saveexec_b64 s[20:21], s[18:19]
	s_cbranch_execz .LBB38_39
; %bb.36:
	v_add_u32_e32 v5, 0xfffffc00, v9
	ds_read_b64 v[5:6], v5
	s_waitcnt lgkmcnt(0)
	v_cmp_eq_u64_e32 vcc, v[1:2], v[5:6]
	s_and_saveexec_b64 s[24:25], vcc
	s_cbranch_execz .LBB38_38
; %bb.37:
	v_add_u32_e32 v5, 0xfffffe00, v10
	ds_read_b32 v5, v5
	s_waitcnt lgkmcnt(0)
	v_add_u32_e32 v13, v5, v13
.LBB38_38:
	s_or_b64 exec, exec, s[24:25]
.LBB38_39:
	s_or_b64 exec, exec, s[20:21]
	s_movk_i32 s20, 0xff
	v_cmp_gt_u32_e64 s[20:21], s20, v0
	s_barrier
	ds_write_b32 v10, v13
	s_waitcnt lgkmcnt(0)
	s_barrier
	s_and_saveexec_b64 s[26:27], s[20:21]
	s_cbranch_execz .LBB38_42
; %bb.40:
	ds_read_b64 v[5:6], v9 offset:8
	v_cmp_lt_i64_e64 s[24:25], -1, v[1:2]
	s_waitcnt lgkmcnt(0)
	v_cmp_ne_u64_e32 vcc, v[1:2], v[5:6]
	s_and_b64 s[24:25], s[24:25], vcc
	s_and_b64 exec, exec, s[24:25]
	s_cbranch_execz .LBB38_42
; %bb.41:
	v_lshlrev_b64 v[5:6], 2, v[1:2]
	v_mov_b32_e32 v7, s41
	v_add_co_u32_e32 v5, vcc, s40, v5
	v_addc_co_u32_e32 v6, vcc, v7, v6, vcc
	global_load_dword v7, v[5:6], off
	s_waitcnt vmcnt(0)
	v_mad_u64_u32 v[7:8], s[24:25], v13, s33, v[7:8]
	global_store_dword v[5:6], v7, off
.LBB38_42:
	s_or_b64 exec, exec, s[26:27]
	s_load_dwordx4 s[24:27], s[4:5], 0x38
	v_cmp_lt_i64_e64 s[4:5], s[30:31], 2
	s_and_b64 vcc, exec, s[4:5]
	s_cbranch_vccnz .LBB38_89
; %bb.43:
	s_add_u32 s42, s30, -1
	s_addc_u32 s43, s31, -1
	s_ashr_i32 s4, s34, 31
	s_sub_u32 s5, 0, s34
	s_subb_u32 s4, 0, s4
	s_add_u32 s35, s46, s5
	s_addc_u32 s46, s47, s4
	s_movk_i32 s4, 0x100
	v_add_co_u32_e32 v3, vcc, s4, v3
	s_mul_i32 s4, s31, s6
	s_mul_hi_u32 s5, s30, s6
	s_add_i32 s5, s5, s4
	s_mul_i32 s4, s30, s6
	s_lshl_b64 s[4:5], s[4:5], 12
	s_add_u32 s4, s36, s4
	v_addc_co_u32_e32 v4, vcc, 0, v4, vcc
	v_lshlrev_b32_e32 v1, 4, v0
	s_addc_u32 s5, s37, s5
	v_mov_b32_e32 v2, s5
	v_add_co_u32_e32 v1, vcc, s4, v1
	v_addc_co_u32_e32 v2, vcc, 0, v2, vcc
	s_movk_i32 s4, 0x1008
	v_add_co_u32_e32 v5, vcc, s4, v1
	s_mov_b64 s[44:45], 0
	v_add_u32_e32 v16, 0xffffff80, v9
	v_subrev_u32_e32 v17, 64, v10
	v_add_u32_e32 v18, 0xffffff00, v9
	v_add_u32_e32 v19, 0xffffff80, v10
	;; [unrolled: 1-line block ×6, first 2 shown]
	v_addc_co_u32_e32 v6, vcc, 0, v2, vcc
	v_mov_b32_e32 v24, 0
	s_branch .LBB38_45
.LBB38_44:                              ;   in Loop: Header=BB38_45 Depth=1
	s_or_b64 exec, exec, s[30:31]
	s_add_u32 s44, s44, 1
	v_add_co_u32_e32 v3, vcc, 0x100, v3
	s_addc_u32 s45, s45, 0
	v_mov_b32_e32 v7, s44
	v_addc_co_u32_e32 v4, vcc, 0, v4, vcc
	v_mov_b32_e32 v8, s45
	v_add_co_u32_e32 v5, vcc, 0x1000, v5
	v_cmp_le_u64_e64 s[4:5], s[42:43], v[7:8]
	v_addc_co_u32_e32 v6, vcc, 0, v6, vcc
	s_and_b64 vcc, exec, s[4:5]
	s_cbranch_vccnz .LBB38_89
.LBB38_45:                              ; =>This Inner Loop Header: Depth=1
	v_cmp_gt_i64_e32 vcc, s[28:29], v[3:4]
	v_mov_b32_e32 v1, -1
	v_mov_b32_e32 v2, -1
	v_mov_b32_e32 v13, 0
	s_and_saveexec_b64 s[4:5], vcc
	s_cbranch_execz .LBB38_47
; %bb.46:                               ;   in Loop: Header=BB38_45 Depth=1
	global_load_dwordx4 v[25:28], v[5:6], off offset:-8 glc slc
	v_mov_b32_e32 v2, s39
	v_add_co_u32_e32 v1, vcc, s38, v3
	v_addc_co_u32_e32 v2, vcc, v2, v4, vcc
	v_mov_b32_e32 v7, s46
	global_load_sbyte v8, v[1:2], off glc slc
	s_waitcnt vmcnt(1)
	v_add_co_u32_e32 v1, vcc, s35, v27
	v_addc_co_u32_e32 v2, vcc, v7, v28, vcc
	global_load_sbyte v7, v[1:2], off
	v_subrev_co_u32_e32 v1, vcc, s34, v25
	v_subbrev_co_u32_e32 v2, vcc, 0, v26, vcc
	s_waitcnt vmcnt(0)
	v_mul_i32_i24_e32 v13, v7, v8
.LBB38_47:                              ;   in Loop: Header=BB38_45 Depth=1
	s_or_b64 exec, exec, s[4:5]
	s_and_saveexec_b64 s[4:5], s[0:1]
	s_cbranch_execz .LBB38_54
; %bb.48:                               ;   in Loop: Header=BB38_45 Depth=1
	ds_read_b64 v[7:8], v24 offset:2040
	s_waitcnt lgkmcnt(0)
	v_cmp_ne_u64_e32 vcc, v[1:2], v[7:8]
	s_and_saveexec_b64 s[30:31], vcc
	s_xor_b64 s[30:31], exec, s[30:31]
	s_cbranch_execz .LBB38_51
; %bb.49:                               ;   in Loop: Header=BB38_45 Depth=1
	v_cmp_gt_i64_e32 vcc, 0, v[7:8]
	s_cbranch_vccnz .LBB38_51
; %bb.50:                               ;   in Loop: Header=BB38_45 Depth=1
	v_lshlrev_b64 v[7:8], 2, v[7:8]
	v_mov_b32_e32 v25, s41
	v_add_co_u32_e32 v7, vcc, s40, v7
	v_addc_co_u32_e32 v8, vcc, v25, v8, vcc
	global_load_dword v25, v[7:8], off
	ds_read_b32 v26, v24 offset:3068
	s_waitcnt lgkmcnt(0)
	v_mul_lo_u32 v26, v26, s33
	s_waitcnt vmcnt(0)
	v_add_u32_e32 v25, v26, v25
	global_store_dword v[7:8], v25, off
.LBB38_51:                              ;   in Loop: Header=BB38_45 Depth=1
	s_andn2_saveexec_b64 s[30:31], s[30:31]
	s_cbranch_execz .LBB38_53
; %bb.52:                               ;   in Loop: Header=BB38_45 Depth=1
	ds_read_b32 v7, v24 offset:3068
	s_waitcnt lgkmcnt(0)
	v_add_u32_e32 v13, v7, v13
.LBB38_53:                              ;   in Loop: Header=BB38_45 Depth=1
	s_or_b64 exec, exec, s[30:31]
.LBB38_54:                              ;   in Loop: Header=BB38_45 Depth=1
	s_or_b64 exec, exec, s[4:5]
	s_waitcnt vmcnt(0) lgkmcnt(0)
	s_barrier
	ds_write_b64 v9, v[1:2]
	ds_write_b32 v10, v13
	s_waitcnt lgkmcnt(0)
	s_barrier
	s_and_saveexec_b64 s[4:5], s[2:3]
	s_cbranch_execz .LBB38_58
; %bb.55:                               ;   in Loop: Header=BB38_45 Depth=1
	ds_read_b64 v[7:8], v11
	s_waitcnt lgkmcnt(0)
	v_cmp_eq_u64_e32 vcc, v[1:2], v[7:8]
	s_and_saveexec_b64 s[30:31], vcc
	s_cbranch_execz .LBB38_57
; %bb.56:                               ;   in Loop: Header=BB38_45 Depth=1
	v_add_u32_e32 v7, -4, v10
	ds_read_b32 v7, v7
	s_waitcnt lgkmcnt(0)
	v_add_u32_e32 v13, v7, v13
.LBB38_57:                              ;   in Loop: Header=BB38_45 Depth=1
	s_or_b64 exec, exec, s[30:31]
.LBB38_58:                              ;   in Loop: Header=BB38_45 Depth=1
	s_or_b64 exec, exec, s[4:5]
	s_barrier
	ds_write_b32 v10, v13
	s_waitcnt lgkmcnt(0)
	s_barrier
	s_and_saveexec_b64 s[4:5], s[22:23]
	s_cbranch_execz .LBB38_62
; %bb.59:                               ;   in Loop: Header=BB38_45 Depth=1
	ds_read_b64 v[7:8], v12
	s_waitcnt lgkmcnt(0)
	v_cmp_eq_u64_e32 vcc, v[1:2], v[7:8]
	s_and_saveexec_b64 s[30:31], vcc
	s_cbranch_execz .LBB38_61
; %bb.60:                               ;   in Loop: Header=BB38_45 Depth=1
	v_add_u32_e32 v7, -8, v10
	ds_read_b32 v7, v7
	s_waitcnt lgkmcnt(0)
	v_add_u32_e32 v13, v7, v13
.LBB38_61:                              ;   in Loop: Header=BB38_45 Depth=1
	s_or_b64 exec, exec, s[30:31]
.LBB38_62:                              ;   in Loop: Header=BB38_45 Depth=1
	s_or_b64 exec, exec, s[4:5]
	s_barrier
	;; [unrolled: 21-line block ×3, first 2 shown]
	ds_write_b32 v10, v13
	s_waitcnt lgkmcnt(0)
	s_barrier
	s_and_saveexec_b64 s[4:5], s[10:11]
	s_cbranch_execz .LBB38_70
; %bb.67:                               ;   in Loop: Header=BB38_45 Depth=1
	ds_read_b64 v[7:8], v15
	s_waitcnt lgkmcnt(0)
	v_cmp_eq_u64_e32 vcc, v[1:2], v[7:8]
	s_and_saveexec_b64 s[30:31], vcc
	s_cbranch_execz .LBB38_69
; %bb.68:                               ;   in Loop: Header=BB38_45 Depth=1
	v_subrev_u32_e32 v7, 32, v10
	ds_read_b32 v7, v7
	s_waitcnt lgkmcnt(0)
	v_add_u32_e32 v13, v7, v13
.LBB38_69:                              ;   in Loop: Header=BB38_45 Depth=1
	s_or_b64 exec, exec, s[30:31]
.LBB38_70:                              ;   in Loop: Header=BB38_45 Depth=1
	s_or_b64 exec, exec, s[4:5]
	s_barrier
	ds_write_b32 v10, v13
	s_waitcnt lgkmcnt(0)
	s_barrier
	s_and_saveexec_b64 s[4:5], s[12:13]
	s_cbranch_execz .LBB38_74
; %bb.71:                               ;   in Loop: Header=BB38_45 Depth=1
	ds_read_b64 v[7:8], v16
	s_waitcnt lgkmcnt(0)
	v_cmp_eq_u64_e32 vcc, v[1:2], v[7:8]
	s_and_saveexec_b64 s[30:31], vcc
	s_cbranch_execz .LBB38_73
; %bb.72:                               ;   in Loop: Header=BB38_45 Depth=1
	ds_read_b32 v7, v17
	s_waitcnt lgkmcnt(0)
	v_add_u32_e32 v13, v7, v13
.LBB38_73:                              ;   in Loop: Header=BB38_45 Depth=1
	s_or_b64 exec, exec, s[30:31]
.LBB38_74:                              ;   in Loop: Header=BB38_45 Depth=1
	s_or_b64 exec, exec, s[4:5]
	s_barrier
	ds_write_b32 v10, v13
	s_waitcnt lgkmcnt(0)
	s_barrier
	s_and_saveexec_b64 s[4:5], s[14:15]
	s_cbranch_execz .LBB38_78
; %bb.75:                               ;   in Loop: Header=BB38_45 Depth=1
	ds_read_b64 v[7:8], v18
	s_waitcnt lgkmcnt(0)
	v_cmp_eq_u64_e32 vcc, v[1:2], v[7:8]
	s_and_saveexec_b64 s[30:31], vcc
	s_cbranch_execz .LBB38_77
; %bb.76:                               ;   in Loop: Header=BB38_45 Depth=1
	ds_read_b32 v7, v19
	s_waitcnt lgkmcnt(0)
	v_add_u32_e32 v13, v7, v13
.LBB38_77:                              ;   in Loop: Header=BB38_45 Depth=1
	s_or_b64 exec, exec, s[30:31]
.LBB38_78:                              ;   in Loop: Header=BB38_45 Depth=1
	;; [unrolled: 20-line block ×4, first 2 shown]
	s_or_b64 exec, exec, s[4:5]
	s_barrier
	ds_write_b32 v10, v13
	s_waitcnt lgkmcnt(0)
	s_barrier
	s_and_saveexec_b64 s[30:31], s[20:21]
	s_cbranch_execz .LBB38_44
; %bb.87:                               ;   in Loop: Header=BB38_45 Depth=1
	ds_read_b64 v[7:8], v9 offset:8
	v_cmp_lt_i64_e64 s[4:5], -1, v[1:2]
	s_waitcnt lgkmcnt(0)
	v_cmp_ne_u64_e32 vcc, v[1:2], v[7:8]
	s_and_b64 s[4:5], s[4:5], vcc
	s_and_b64 exec, exec, s[4:5]
	s_cbranch_execz .LBB38_44
; %bb.88:                               ;   in Loop: Header=BB38_45 Depth=1
	v_lshlrev_b64 v[7:8], 2, v[1:2]
	v_mov_b32_e32 v25, s41
	v_add_co_u32_e32 v7, vcc, s40, v7
	v_addc_co_u32_e32 v8, vcc, v25, v8, vcc
	global_load_dword v25, v[7:8], off
	s_waitcnt vmcnt(0)
	v_mad_u64_u32 v[25:26], s[4:5], v13, s33, v[25:26]
	global_store_dword v[7:8], v25, off
	s_branch .LBB38_44
.LBB38_89:
	s_movk_i32 s0, 0xff
	v_cmp_eq_u32_e32 vcc, s0, v0
	s_and_saveexec_b64 s[0:1], vcc
	s_cbranch_execz .LBB38_91
; %bb.90:
	s_lshl_b64 s[0:1], s[6:7], 3
	s_waitcnt lgkmcnt(0)
	s_add_u32 s0, s24, s0
	v_mul_lo_u32 v3, v13, s33
	s_addc_u32 s1, s25, s1
	s_lshl_b64 s[2:3], s[6:7], 2
	v_mov_b32_e32 v0, 0
	s_add_u32 s2, s26, s2
	s_addc_u32 s3, s27, s3
	global_store_dwordx2 v0, v[1:2], s[0:1] glc slc
	global_store_dword v0, v3, s[2:3] glc slc
.LBB38_91:
	s_endpgm
	.section	.rodata,"a",@progbits
	.p2align	6, 0x0
	.amdhsa_kernel _ZN9rocsparseL26coomvn_aos_segmented_loopsILj256ElaaiiEEvlT0_NS_24const_host_device_scalarIT4_EEPKS1_PKT1_PKT2_PT3_PS1_PS3_21rocsparse_index_base_b
		.amdhsa_group_segment_fixed_size 3072
		.amdhsa_private_segment_fixed_size 0
		.amdhsa_kernarg_size 80
		.amdhsa_user_sgpr_count 6
		.amdhsa_user_sgpr_private_segment_buffer 1
		.amdhsa_user_sgpr_dispatch_ptr 0
		.amdhsa_user_sgpr_queue_ptr 0
		.amdhsa_user_sgpr_kernarg_segment_ptr 1
		.amdhsa_user_sgpr_dispatch_id 0
		.amdhsa_user_sgpr_flat_scratch_init 0
		.amdhsa_user_sgpr_private_segment_size 0
		.amdhsa_uses_dynamic_stack 0
		.amdhsa_system_sgpr_private_segment_wavefront_offset 0
		.amdhsa_system_sgpr_workgroup_id_x 1
		.amdhsa_system_sgpr_workgroup_id_y 0
		.amdhsa_system_sgpr_workgroup_id_z 0
		.amdhsa_system_sgpr_workgroup_info 0
		.amdhsa_system_vgpr_workitem_id 0
		.amdhsa_next_free_vgpr 29
		.amdhsa_next_free_sgpr 48
		.amdhsa_reserve_vcc 1
		.amdhsa_reserve_flat_scratch 0
		.amdhsa_float_round_mode_32 0
		.amdhsa_float_round_mode_16_64 0
		.amdhsa_float_denorm_mode_32 3
		.amdhsa_float_denorm_mode_16_64 3
		.amdhsa_dx10_clamp 1
		.amdhsa_ieee_mode 1
		.amdhsa_fp16_overflow 0
		.amdhsa_exception_fp_ieee_invalid_op 0
		.amdhsa_exception_fp_denorm_src 0
		.amdhsa_exception_fp_ieee_div_zero 0
		.amdhsa_exception_fp_ieee_overflow 0
		.amdhsa_exception_fp_ieee_underflow 0
		.amdhsa_exception_fp_ieee_inexact 0
		.amdhsa_exception_int_div_zero 0
	.end_amdhsa_kernel
	.section	.text._ZN9rocsparseL26coomvn_aos_segmented_loopsILj256ElaaiiEEvlT0_NS_24const_host_device_scalarIT4_EEPKS1_PKT1_PKT2_PT3_PS1_PS3_21rocsparse_index_base_b,"axG",@progbits,_ZN9rocsparseL26coomvn_aos_segmented_loopsILj256ElaaiiEEvlT0_NS_24const_host_device_scalarIT4_EEPKS1_PKT1_PKT2_PT3_PS1_PS3_21rocsparse_index_base_b,comdat
.Lfunc_end38:
	.size	_ZN9rocsparseL26coomvn_aos_segmented_loopsILj256ElaaiiEEvlT0_NS_24const_host_device_scalarIT4_EEPKS1_PKT1_PKT2_PT3_PS1_PS3_21rocsparse_index_base_b, .Lfunc_end38-_ZN9rocsparseL26coomvn_aos_segmented_loopsILj256ElaaiiEEvlT0_NS_24const_host_device_scalarIT4_EEPKS1_PKT1_PKT2_PT3_PS1_PS3_21rocsparse_index_base_b
                                        ; -- End function
	.set _ZN9rocsparseL26coomvn_aos_segmented_loopsILj256ElaaiiEEvlT0_NS_24const_host_device_scalarIT4_EEPKS1_PKT1_PKT2_PT3_PS1_PS3_21rocsparse_index_base_b.num_vgpr, 29
	.set _ZN9rocsparseL26coomvn_aos_segmented_loopsILj256ElaaiiEEvlT0_NS_24const_host_device_scalarIT4_EEPKS1_PKT1_PKT2_PT3_PS1_PS3_21rocsparse_index_base_b.num_agpr, 0
	.set _ZN9rocsparseL26coomvn_aos_segmented_loopsILj256ElaaiiEEvlT0_NS_24const_host_device_scalarIT4_EEPKS1_PKT1_PKT2_PT3_PS1_PS3_21rocsparse_index_base_b.numbered_sgpr, 48
	.set _ZN9rocsparseL26coomvn_aos_segmented_loopsILj256ElaaiiEEvlT0_NS_24const_host_device_scalarIT4_EEPKS1_PKT1_PKT2_PT3_PS1_PS3_21rocsparse_index_base_b.num_named_barrier, 0
	.set _ZN9rocsparseL26coomvn_aos_segmented_loopsILj256ElaaiiEEvlT0_NS_24const_host_device_scalarIT4_EEPKS1_PKT1_PKT2_PT3_PS1_PS3_21rocsparse_index_base_b.private_seg_size, 0
	.set _ZN9rocsparseL26coomvn_aos_segmented_loopsILj256ElaaiiEEvlT0_NS_24const_host_device_scalarIT4_EEPKS1_PKT1_PKT2_PT3_PS1_PS3_21rocsparse_index_base_b.uses_vcc, 1
	.set _ZN9rocsparseL26coomvn_aos_segmented_loopsILj256ElaaiiEEvlT0_NS_24const_host_device_scalarIT4_EEPKS1_PKT1_PKT2_PT3_PS1_PS3_21rocsparse_index_base_b.uses_flat_scratch, 0
	.set _ZN9rocsparseL26coomvn_aos_segmented_loopsILj256ElaaiiEEvlT0_NS_24const_host_device_scalarIT4_EEPKS1_PKT1_PKT2_PT3_PS1_PS3_21rocsparse_index_base_b.has_dyn_sized_stack, 0
	.set _ZN9rocsparseL26coomvn_aos_segmented_loopsILj256ElaaiiEEvlT0_NS_24const_host_device_scalarIT4_EEPKS1_PKT1_PKT2_PT3_PS1_PS3_21rocsparse_index_base_b.has_recursion, 0
	.set _ZN9rocsparseL26coomvn_aos_segmented_loopsILj256ElaaiiEEvlT0_NS_24const_host_device_scalarIT4_EEPKS1_PKT1_PKT2_PT3_PS1_PS3_21rocsparse_index_base_b.has_indirect_call, 0
	.section	.AMDGPU.csdata,"",@progbits
; Kernel info:
; codeLenInByte = 2516
; TotalNumSgprs: 52
; NumVgprs: 29
; ScratchSize: 0
; MemoryBound: 0
; FloatMode: 240
; IeeeMode: 1
; LDSByteSize: 3072 bytes/workgroup (compile time only)
; SGPRBlocks: 6
; VGPRBlocks: 7
; NumSGPRsForWavesPerEU: 52
; NumVGPRsForWavesPerEU: 29
; Occupancy: 8
; WaveLimiterHint : 1
; COMPUTE_PGM_RSRC2:SCRATCH_EN: 0
; COMPUTE_PGM_RSRC2:USER_SGPR: 6
; COMPUTE_PGM_RSRC2:TRAP_HANDLER: 0
; COMPUTE_PGM_RSRC2:TGID_X_EN: 1
; COMPUTE_PGM_RSRC2:TGID_Y_EN: 0
; COMPUTE_PGM_RSRC2:TGID_Z_EN: 0
; COMPUTE_PGM_RSRC2:TIDIG_COMP_CNT: 0
	.section	.text._ZN9rocsparseL29coomvn_segmented_loops_reduceILj256EliiEEvT0_NS_24const_host_device_scalarIT2_EEPKS1_PKS3_PT1_b,"axG",@progbits,_ZN9rocsparseL29coomvn_segmented_loops_reduceILj256EliiEEvT0_NS_24const_host_device_scalarIT2_EEPKS1_PKS3_PT1_b,comdat
	.globl	_ZN9rocsparseL29coomvn_segmented_loops_reduceILj256EliiEEvT0_NS_24const_host_device_scalarIT2_EEPKS1_PKS3_PT1_b ; -- Begin function _ZN9rocsparseL29coomvn_segmented_loops_reduceILj256EliiEEvT0_NS_24const_host_device_scalarIT2_EEPKS1_PKS3_PT1_b
	.p2align	8
	.type	_ZN9rocsparseL29coomvn_segmented_loops_reduceILj256EliiEEvT0_NS_24const_host_device_scalarIT2_EEPKS1_PKS3_PT1_b,@function
_ZN9rocsparseL29coomvn_segmented_loops_reduceILj256EliiEEvT0_NS_24const_host_device_scalarIT2_EEPKS1_PKS3_PT1_b: ; @_ZN9rocsparseL29coomvn_segmented_loops_reduceILj256EliiEEvT0_NS_24const_host_device_scalarIT2_EEPKS1_PKS3_PT1_b
; %bb.0:
	s_load_dword s0, s[4:5], 0x28
	s_load_dwordx4 s[8:11], s[4:5], 0x0
	s_waitcnt lgkmcnt(0)
	s_bitcmp0_b32 s0, 0
	s_cbranch_scc0 .LBB39_2
; %bb.1:
	s_load_dword s2, s[10:11], 0x0
	s_cbranch_execz .LBB39_3
	s_branch .LBB39_4
.LBB39_2:
                                        ; implicit-def: $sgpr2
.LBB39_3:
	s_waitcnt lgkmcnt(0)
	s_mov_b32 s2, s10
.LBB39_4:
	s_waitcnt lgkmcnt(0)
	s_cmp_eq_u32 s2, 0
	s_cbranch_scc1 .LBB39_46
; %bb.5:
	v_cmp_lt_i64_e64 s[0:1], s[8:9], 1
	s_and_b64 vcc, exec, s[0:1]
	s_cbranch_vccnz .LBB39_46
; %bb.6:
	v_subrev_co_u32_e32 v2, vcc, 1, v0
	v_mov_b32_e32 v3, 0x800
	s_xor_b64 s[10:11], vcc, -1
	v_lshl_add_u32 v11, v2, 2, v3
	v_subrev_co_u32_e32 v2, vcc, 2, v0
	s_xor_b64 s[16:17], vcc, -1
	v_lshl_add_u32 v12, v2, 2, v3
	v_subrev_co_u32_e32 v2, vcc, 4, v0
	;; [unrolled: 3-line block ×3, first 2 shown]
	s_load_dwordx4 s[12:15], s[4:5], 0x10
	s_load_dwordx2 s[6:7], s[4:5], 0x20
	s_xor_b64 s[20:21], vcc, -1
	v_lshl_add_u32 v14, v2, 2, v3
	v_subrev_co_u32_e32 v2, vcc, 16, v0
	s_xor_b64 s[22:23], vcc, -1
	v_lshl_add_u32 v15, v2, 2, v3
	v_subrev_co_u32_e32 v2, vcc, 32, v0
	v_lshl_add_u32 v16, v2, 2, v3
	v_subrev_co_u32_e64 v2, s[0:1], 64, v0
	s_movk_i32 s2, 0x80
	v_lshlrev_b32_e32 v1, 2, v0
	v_lshl_add_u32 v17, v2, 2, v3
	v_subrev_co_u32_e64 v2, s[2:3], s2, v0
	v_or_b32_e32 v10, 0x800, v1
	v_lshl_add_u32 v18, v2, 2, v3
	s_waitcnt lgkmcnt(0)
	v_mov_b32_e32 v2, s15
	v_add_co_u32_e64 v1, s[4:5], s14, v1
	v_lshlrev_b32_e32 v9, 3, v0
	v_addc_co_u32_e64 v2, s[4:5], 0, v2, s[4:5]
	v_mov_b32_e32 v4, s13
	v_add_co_u32_e64 v3, s[4:5], s12, v9
	v_addc_co_u32_e64 v4, s[4:5], 0, v4, s[4:5]
	s_xor_b64 s[12:13], s[0:1], -1
	s_movk_i32 s0, 0xff
	v_add_u32_e32 v19, 0xffffff80, v9
	s_xor_b64 s[4:5], vcc, -1
	s_xor_b64 s[14:15], s[2:3], -1
	v_cmp_gt_u32_e64 s[0:1], s0, v0
	s_mov_b64 s[24:25], 0
	v_add_u32_e32 v20, 0xffffff00, v9
	v_add_u32_e32 v21, 0xfffffe00, v9
	v_add_u32_e32 v22, 0xfffffc00, v9
	v_add_u32_e32 v23, -8, v9
	v_add_u32_e32 v24, -16, v9
	v_subrev_u32_e32 v25, 32, v9
	v_subrev_u32_e32 v26, 64, v9
	s_branch .LBB39_8
.LBB39_7:                               ;   in Loop: Header=BB39_8 Depth=1
	s_or_b64 exec, exec, s[2:3]
	s_add_u32 s24, s24, 0x100
	v_add_co_u32_e32 v1, vcc, 0x400, v1
	v_mov_b32_e32 v5, s8
	s_addc_u32 s25, s25, 0
	v_addc_co_u32_e32 v2, vcc, 0, v2, vcc
	v_mov_b32_e32 v6, s9
	v_add_co_u32_e32 v3, vcc, 0x800, v3
	v_cmp_lt_i64_e64 s[2:3], s[24:25], v[5:6]
	v_addc_co_u32_e32 v4, vcc, 0, v4, vcc
	s_and_b64 vcc, exec, s[2:3]
	s_waitcnt vmcnt(0)
	s_barrier
	s_cbranch_vccz .LBB39_46
.LBB39_8:                               ; =>This Inner Loop Header: Depth=1
	v_mov_b32_e32 v6, s25
	v_add_co_u32_e32 v5, vcc, s24, v0
	v_addc_co_u32_e32 v6, vcc, 0, v6, vcc
	v_cmp_gt_i64_e32 vcc, s[8:9], v[5:6]
	v_mov_b32_e32 v5, -1
	v_mov_b32_e32 v6, -1
	v_mov_b32_e32 v7, 0
	s_and_saveexec_b64 s[2:3], vcc
	s_cbranch_execz .LBB39_10
; %bb.9:                                ;   in Loop: Header=BB39_8 Depth=1
	global_load_dwordx2 v[5:6], v[3:4], off
	global_load_dword v7, v[1:2], off
.LBB39_10:                              ;   in Loop: Header=BB39_8 Depth=1
	s_or_b64 exec, exec, s[2:3]
	s_waitcnt vmcnt(1)
	ds_write_b64 v9, v[5:6]
	s_waitcnt vmcnt(0)
	ds_write_b32 v10, v7
	v_mov_b32_e32 v5, 0
	v_mov_b32_e32 v6, 0
	s_waitcnt lgkmcnt(0)
	s_barrier
	s_and_saveexec_b64 s[2:3], s[10:11]
	s_cbranch_execz .LBB39_14
; %bb.11:                               ;   in Loop: Header=BB39_8 Depth=1
	ds_read2_b64 v[27:30], v23 offset1:1
	v_mov_b32_e32 v6, 0
	s_waitcnt lgkmcnt(0)
	v_cmp_eq_u64_e32 vcc, v[29:30], v[27:28]
	s_and_saveexec_b64 s[26:27], vcc
; %bb.12:                               ;   in Loop: Header=BB39_8 Depth=1
	ds_read_b32 v6, v11
; %bb.13:                               ;   in Loop: Header=BB39_8 Depth=1
	s_or_b64 exec, exec, s[26:27]
.LBB39_14:                              ;   in Loop: Header=BB39_8 Depth=1
	s_or_b64 exec, exec, s[2:3]
	s_waitcnt lgkmcnt(0)
	s_barrier
	ds_read_b32 v7, v10
	s_waitcnt lgkmcnt(0)
	v_add_u32_e32 v6, v7, v6
	ds_write_b32 v10, v6
	s_waitcnt lgkmcnt(0)
	s_barrier
	s_and_saveexec_b64 s[2:3], s[16:17]
	s_cbranch_execz .LBB39_18
; %bb.15:                               ;   in Loop: Header=BB39_8 Depth=1
	ds_read_b64 v[5:6], v9
	ds_read_b64 v[7:8], v24
	s_waitcnt lgkmcnt(0)
	v_cmp_eq_u64_e32 vcc, v[5:6], v[7:8]
	v_mov_b32_e32 v5, 0
	s_and_saveexec_b64 s[26:27], vcc
; %bb.16:                               ;   in Loop: Header=BB39_8 Depth=1
	ds_read_b32 v5, v12
; %bb.17:                               ;   in Loop: Header=BB39_8 Depth=1
	s_or_b64 exec, exec, s[26:27]
.LBB39_18:                              ;   in Loop: Header=BB39_8 Depth=1
	s_or_b64 exec, exec, s[2:3]
	s_waitcnt lgkmcnt(0)
	s_barrier
	ds_read_b32 v6, v10
	s_waitcnt lgkmcnt(0)
	v_add_u32_e32 v5, v6, v5
	ds_write_b32 v10, v5
	v_mov_b32_e32 v5, 0
	v_mov_b32_e32 v6, 0
	s_waitcnt lgkmcnt(0)
	s_barrier
	s_and_saveexec_b64 s[2:3], s[18:19]
	s_cbranch_execz .LBB39_22
; %bb.19:                               ;   in Loop: Header=BB39_8 Depth=1
	ds_read_b64 v[6:7], v9
	ds_read_b64 v[27:28], v25
	s_waitcnt lgkmcnt(0)
	v_cmp_eq_u64_e32 vcc, v[6:7], v[27:28]
	v_mov_b32_e32 v6, 0
	s_and_saveexec_b64 s[26:27], vcc
; %bb.20:                               ;   in Loop: Header=BB39_8 Depth=1
	ds_read_b32 v6, v13
; %bb.21:                               ;   in Loop: Header=BB39_8 Depth=1
	s_or_b64 exec, exec, s[26:27]
.LBB39_22:                              ;   in Loop: Header=BB39_8 Depth=1
	s_or_b64 exec, exec, s[2:3]
	s_waitcnt lgkmcnt(0)
	s_barrier
	ds_read_b32 v7, v10
	s_waitcnt lgkmcnt(0)
	v_add_u32_e32 v6, v7, v6
	ds_write_b32 v10, v6
	s_waitcnt lgkmcnt(0)
	s_barrier
	s_and_saveexec_b64 s[2:3], s[20:21]
	s_cbranch_execz .LBB39_26
; %bb.23:                               ;   in Loop: Header=BB39_8 Depth=1
	ds_read_b64 v[5:6], v9
	ds_read_b64 v[7:8], v26
	s_waitcnt lgkmcnt(0)
	v_cmp_eq_u64_e32 vcc, v[5:6], v[7:8]
	v_mov_b32_e32 v5, 0
	s_and_saveexec_b64 s[26:27], vcc
; %bb.24:                               ;   in Loop: Header=BB39_8 Depth=1
	ds_read_b32 v5, v14
; %bb.25:                               ;   in Loop: Header=BB39_8 Depth=1
	s_or_b64 exec, exec, s[26:27]
.LBB39_26:                              ;   in Loop: Header=BB39_8 Depth=1
	s_or_b64 exec, exec, s[2:3]
	s_waitcnt lgkmcnt(0)
	s_barrier
	ds_read_b32 v6, v10
	s_waitcnt lgkmcnt(0)
	v_add_u32_e32 v5, v6, v5
	ds_write_b32 v10, v5
	v_mov_b32_e32 v5, 0
	v_mov_b32_e32 v6, 0
	s_waitcnt lgkmcnt(0)
	s_barrier
	s_and_saveexec_b64 s[2:3], s[22:23]
	s_cbranch_execz .LBB39_30
; %bb.27:                               ;   in Loop: Header=BB39_8 Depth=1
	ds_read_b64 v[6:7], v9
	ds_read_b64 v[27:28], v19
	s_waitcnt lgkmcnt(0)
	v_cmp_eq_u64_e32 vcc, v[6:7], v[27:28]
	v_mov_b32_e32 v6, 0
	s_and_saveexec_b64 s[26:27], vcc
; %bb.28:                               ;   in Loop: Header=BB39_8 Depth=1
	ds_read_b32 v6, v15
; %bb.29:                               ;   in Loop: Header=BB39_8 Depth=1
	s_or_b64 exec, exec, s[26:27]
.LBB39_30:                              ;   in Loop: Header=BB39_8 Depth=1
	;; [unrolled: 48-line block ×3, first 2 shown]
	s_or_b64 exec, exec, s[2:3]
	s_waitcnt lgkmcnt(0)
	s_barrier
	ds_read_b32 v7, v10
	s_waitcnt lgkmcnt(0)
	v_add_u32_e32 v6, v7, v6
	ds_write_b32 v10, v6
	s_waitcnt lgkmcnt(0)
	s_barrier
	s_and_saveexec_b64 s[2:3], s[14:15]
	s_cbranch_execz .LBB39_42
; %bb.39:                               ;   in Loop: Header=BB39_8 Depth=1
	ds_read_b64 v[5:6], v9
	ds_read_b64 v[7:8], v22
	s_waitcnt lgkmcnt(0)
	v_cmp_eq_u64_e32 vcc, v[5:6], v[7:8]
	v_mov_b32_e32 v5, 0
	s_and_saveexec_b64 s[26:27], vcc
; %bb.40:                               ;   in Loop: Header=BB39_8 Depth=1
	ds_read_b32 v5, v18
; %bb.41:                               ;   in Loop: Header=BB39_8 Depth=1
	s_or_b64 exec, exec, s[26:27]
.LBB39_42:                              ;   in Loop: Header=BB39_8 Depth=1
	s_or_b64 exec, exec, s[2:3]
	s_waitcnt lgkmcnt(0)
	s_barrier
	ds_read_b32 v6, v10
	v_mov_b32_e32 v7, -1
	v_mov_b32_e32 v8, -1
	s_waitcnt lgkmcnt(0)
	v_add_u32_e32 v5, v6, v5
	ds_write_b32 v10, v5
	s_waitcnt lgkmcnt(0)
	s_barrier
	ds_read_b64 v[5:6], v9
	s_and_saveexec_b64 s[2:3], s[0:1]
; %bb.43:                               ;   in Loop: Header=BB39_8 Depth=1
	ds_read_b64 v[7:8], v9 offset:8
; %bb.44:                               ;   in Loop: Header=BB39_8 Depth=1
	s_or_b64 exec, exec, s[2:3]
	s_waitcnt lgkmcnt(0)
	v_cmp_ne_u64_e32 vcc, v[5:6], v[7:8]
	v_cmp_lt_i64_e64 s[2:3], -1, v[5:6]
	s_and_b64 s[26:27], s[2:3], vcc
	s_and_saveexec_b64 s[2:3], s[26:27]
	s_cbranch_execz .LBB39_7
; %bb.45:                               ;   in Loop: Header=BB39_8 Depth=1
	v_lshlrev_b64 v[5:6], 2, v[5:6]
	v_mov_b32_e32 v7, s7
	v_add_co_u32_e32 v5, vcc, s6, v5
	v_addc_co_u32_e32 v6, vcc, v7, v6, vcc
	global_load_dword v7, v[5:6], off
	ds_read_b32 v8, v10
	s_waitcnt vmcnt(0) lgkmcnt(0)
	v_add_u32_e32 v7, v8, v7
	global_store_dword v[5:6], v7, off
	s_branch .LBB39_7
.LBB39_46:
	s_endpgm
	.section	.rodata,"a",@progbits
	.p2align	6, 0x0
	.amdhsa_kernel _ZN9rocsparseL29coomvn_segmented_loops_reduceILj256EliiEEvT0_NS_24const_host_device_scalarIT2_EEPKS1_PKS3_PT1_b
		.amdhsa_group_segment_fixed_size 3072
		.amdhsa_private_segment_fixed_size 0
		.amdhsa_kernarg_size 44
		.amdhsa_user_sgpr_count 6
		.amdhsa_user_sgpr_private_segment_buffer 1
		.amdhsa_user_sgpr_dispatch_ptr 0
		.amdhsa_user_sgpr_queue_ptr 0
		.amdhsa_user_sgpr_kernarg_segment_ptr 1
		.amdhsa_user_sgpr_dispatch_id 0
		.amdhsa_user_sgpr_flat_scratch_init 0
		.amdhsa_user_sgpr_private_segment_size 0
		.amdhsa_uses_dynamic_stack 0
		.amdhsa_system_sgpr_private_segment_wavefront_offset 0
		.amdhsa_system_sgpr_workgroup_id_x 1
		.amdhsa_system_sgpr_workgroup_id_y 0
		.amdhsa_system_sgpr_workgroup_id_z 0
		.amdhsa_system_sgpr_workgroup_info 0
		.amdhsa_system_vgpr_workitem_id 0
		.amdhsa_next_free_vgpr 31
		.amdhsa_next_free_sgpr 28
		.amdhsa_reserve_vcc 1
		.amdhsa_reserve_flat_scratch 0
		.amdhsa_float_round_mode_32 0
		.amdhsa_float_round_mode_16_64 0
		.amdhsa_float_denorm_mode_32 3
		.amdhsa_float_denorm_mode_16_64 3
		.amdhsa_dx10_clamp 1
		.amdhsa_ieee_mode 1
		.amdhsa_fp16_overflow 0
		.amdhsa_exception_fp_ieee_invalid_op 0
		.amdhsa_exception_fp_denorm_src 0
		.amdhsa_exception_fp_ieee_div_zero 0
		.amdhsa_exception_fp_ieee_overflow 0
		.amdhsa_exception_fp_ieee_underflow 0
		.amdhsa_exception_fp_ieee_inexact 0
		.amdhsa_exception_int_div_zero 0
	.end_amdhsa_kernel
	.section	.text._ZN9rocsparseL29coomvn_segmented_loops_reduceILj256EliiEEvT0_NS_24const_host_device_scalarIT2_EEPKS1_PKS3_PT1_b,"axG",@progbits,_ZN9rocsparseL29coomvn_segmented_loops_reduceILj256EliiEEvT0_NS_24const_host_device_scalarIT2_EEPKS1_PKS3_PT1_b,comdat
.Lfunc_end39:
	.size	_ZN9rocsparseL29coomvn_segmented_loops_reduceILj256EliiEEvT0_NS_24const_host_device_scalarIT2_EEPKS1_PKS3_PT1_b, .Lfunc_end39-_ZN9rocsparseL29coomvn_segmented_loops_reduceILj256EliiEEvT0_NS_24const_host_device_scalarIT2_EEPKS1_PKS3_PT1_b
                                        ; -- End function
	.set _ZN9rocsparseL29coomvn_segmented_loops_reduceILj256EliiEEvT0_NS_24const_host_device_scalarIT2_EEPKS1_PKS3_PT1_b.num_vgpr, 31
	.set _ZN9rocsparseL29coomvn_segmented_loops_reduceILj256EliiEEvT0_NS_24const_host_device_scalarIT2_EEPKS1_PKS3_PT1_b.num_agpr, 0
	.set _ZN9rocsparseL29coomvn_segmented_loops_reduceILj256EliiEEvT0_NS_24const_host_device_scalarIT2_EEPKS1_PKS3_PT1_b.numbered_sgpr, 28
	.set _ZN9rocsparseL29coomvn_segmented_loops_reduceILj256EliiEEvT0_NS_24const_host_device_scalarIT2_EEPKS1_PKS3_PT1_b.num_named_barrier, 0
	.set _ZN9rocsparseL29coomvn_segmented_loops_reduceILj256EliiEEvT0_NS_24const_host_device_scalarIT2_EEPKS1_PKS3_PT1_b.private_seg_size, 0
	.set _ZN9rocsparseL29coomvn_segmented_loops_reduceILj256EliiEEvT0_NS_24const_host_device_scalarIT2_EEPKS1_PKS3_PT1_b.uses_vcc, 1
	.set _ZN9rocsparseL29coomvn_segmented_loops_reduceILj256EliiEEvT0_NS_24const_host_device_scalarIT2_EEPKS1_PKS3_PT1_b.uses_flat_scratch, 0
	.set _ZN9rocsparseL29coomvn_segmented_loops_reduceILj256EliiEEvT0_NS_24const_host_device_scalarIT2_EEPKS1_PKS3_PT1_b.has_dyn_sized_stack, 0
	.set _ZN9rocsparseL29coomvn_segmented_loops_reduceILj256EliiEEvT0_NS_24const_host_device_scalarIT2_EEPKS1_PKS3_PT1_b.has_recursion, 0
	.set _ZN9rocsparseL29coomvn_segmented_loops_reduceILj256EliiEEvT0_NS_24const_host_device_scalarIT2_EEPKS1_PKS3_PT1_b.has_indirect_call, 0
	.section	.AMDGPU.csdata,"",@progbits
; Kernel info:
; codeLenInByte = 1444
; TotalNumSgprs: 32
; NumVgprs: 31
; ScratchSize: 0
; MemoryBound: 0
; FloatMode: 240
; IeeeMode: 1
; LDSByteSize: 3072 bytes/workgroup (compile time only)
; SGPRBlocks: 3
; VGPRBlocks: 7
; NumSGPRsForWavesPerEU: 32
; NumVGPRsForWavesPerEU: 31
; Occupancy: 8
; WaveLimiterHint : 0
; COMPUTE_PGM_RSRC2:SCRATCH_EN: 0
; COMPUTE_PGM_RSRC2:USER_SGPR: 6
; COMPUTE_PGM_RSRC2:TRAP_HANDLER: 0
; COMPUTE_PGM_RSRC2:TGID_X_EN: 1
; COMPUTE_PGM_RSRC2:TGID_Y_EN: 0
; COMPUTE_PGM_RSRC2:TGID_Z_EN: 0
; COMPUTE_PGM_RSRC2:TIDIG_COMP_CNT: 0
	.section	.text._ZN9rocsparseL23coomvn_aos_atomic_loopsILj256ELj1EiaaffEEvlNS_24const_host_device_scalarIT5_EEPKT1_PKT2_PKT3_PT4_21rocsparse_index_base_b,"axG",@progbits,_ZN9rocsparseL23coomvn_aos_atomic_loopsILj256ELj1EiaaffEEvlNS_24const_host_device_scalarIT5_EEPKT1_PKT2_PKT3_PT4_21rocsparse_index_base_b,comdat
	.globl	_ZN9rocsparseL23coomvn_aos_atomic_loopsILj256ELj1EiaaffEEvlNS_24const_host_device_scalarIT5_EEPKT1_PKT2_PKT3_PT4_21rocsparse_index_base_b ; -- Begin function _ZN9rocsparseL23coomvn_aos_atomic_loopsILj256ELj1EiaaffEEvlNS_24const_host_device_scalarIT5_EEPKT1_PKT2_PKT3_PT4_21rocsparse_index_base_b
	.p2align	8
	.type	_ZN9rocsparseL23coomvn_aos_atomic_loopsILj256ELj1EiaaffEEvlNS_24const_host_device_scalarIT5_EEPKT1_PKT2_PKT3_PT4_21rocsparse_index_base_b,@function
_ZN9rocsparseL23coomvn_aos_atomic_loopsILj256ELj1EiaaffEEvlNS_24const_host_device_scalarIT5_EEPKT1_PKT2_PKT3_PT4_21rocsparse_index_base_b: ; @_ZN9rocsparseL23coomvn_aos_atomic_loopsILj256ELj1EiaaffEEvlNS_24const_host_device_scalarIT5_EEPKT1_PKT2_PKT3_PT4_21rocsparse_index_base_b
; %bb.0:
	s_load_dwordx2 s[8:9], s[4:5], 0x30
	s_load_dwordx4 s[0:3], s[4:5], 0x0
	s_waitcnt lgkmcnt(0)
	s_bitcmp1_b32 s9, 0
	s_cselect_b64 s[10:11], -1, 0
	s_and_b64 vcc, exec, s[10:11]
	s_cbranch_vccnz .LBB40_2
; %bb.1:
	s_load_dword s2, s[2:3], 0x0
.LBB40_2:
	s_waitcnt lgkmcnt(0)
	v_cmp_eq_f32_e64 s[10:11], s2, 0
	s_and_b64 vcc, exec, s[10:11]
	s_cbranch_vccnz .LBB40_44
; %bb.3:
	v_lshl_or_b32 v1, s6, 8, v0
	v_mov_b32_e32 v2, 0
	v_cmp_gt_i64_e32 vcc, s[0:1], v[1:2]
	v_mov_b32_e32 v3, -1
	s_and_saveexec_b64 s[0:1], vcc
	s_cbranch_execz .LBB40_5
; %bb.4:
	s_load_dwordx4 s[12:15], s[4:5], 0x10
	s_load_dwordx2 s[6:7], s[4:5], 0x20
	v_lshlrev_b64 v[2:3], 3, v[1:2]
	s_waitcnt lgkmcnt(0)
	v_mov_b32_e32 v4, s13
	v_add_co_u32_e32 v2, vcc, s12, v2
	v_addc_co_u32_e32 v3, vcc, v4, v3, vcc
	global_load_dwordx2 v[2:3], v[2:3], off glc slc
	v_mov_b32_e32 v5, s15
	v_add_co_u32_e32 v4, vcc, s14, v1
	v_addc_co_u32_e32 v5, vcc, 0, v5, vcc
	v_mov_b32_e32 v6, s7
	global_load_sbyte v1, v[4:5], off glc slc
	s_waitcnt vmcnt(1)
	v_subrev_u32_e32 v3, s8, v3
	v_ashrrev_i32_e32 v4, 31, v3
	v_add_co_u32_e32 v3, vcc, s6, v3
	v_addc_co_u32_e32 v4, vcc, v6, v4, vcc
	global_load_sbyte v3, v[3:4], off
	s_waitcnt vmcnt(1)
	v_cvt_f32_i32_e32 v1, v1
	s_waitcnt vmcnt(0)
	v_cvt_f32_i32_e32 v4, v3
	v_subrev_u32_e32 v3, s8, v2
	v_mul_f32_e32 v2, v1, v4
.LBB40_5:
	s_or_b64 exec, exec, s[0:1]
	v_lshlrev_b32_e32 v1, 2, v0
	v_or_b32_e32 v4, 0x400, v1
	v_cmp_ne_u32_e32 vcc, 0, v0
	ds_write2st64_b32 v1, v3, v2 offset1:4
	s_waitcnt lgkmcnt(0)
	s_barrier
	s_and_saveexec_b64 s[0:1], vcc
	s_cbranch_execz .LBB40_9
; %bb.6:
	v_add_u32_e32 v5, -4, v1
	ds_read_b32 v5, v5
	s_waitcnt lgkmcnt(0)
	v_cmp_eq_u32_e32 vcc, v3, v5
	s_and_saveexec_b64 s[6:7], vcc
	s_cbranch_execz .LBB40_8
; %bb.7:
	v_add_u32_e32 v5, -4, v4
	ds_read_b32 v5, v5
	s_waitcnt lgkmcnt(0)
	v_add_f32_e32 v2, v2, v5
.LBB40_8:
	s_or_b64 exec, exec, s[6:7]
.LBB40_9:
	s_or_b64 exec, exec, s[0:1]
	v_cmp_lt_u32_e32 vcc, 1, v0
	s_barrier
	ds_write_b32 v4, v2
	s_waitcnt lgkmcnt(0)
	s_barrier
	s_and_saveexec_b64 s[0:1], vcc
	s_cbranch_execz .LBB40_13
; %bb.10:
	v_add_u32_e32 v5, -8, v1
	ds_read_b32 v5, v5
	s_waitcnt lgkmcnt(0)
	v_cmp_eq_u32_e32 vcc, v3, v5
	s_and_saveexec_b64 s[6:7], vcc
	s_cbranch_execz .LBB40_12
; %bb.11:
	v_add_u32_e32 v5, -8, v4
	ds_read_b32 v5, v5
	s_waitcnt lgkmcnt(0)
	v_add_f32_e32 v2, v2, v5
.LBB40_12:
	s_or_b64 exec, exec, s[6:7]
.LBB40_13:
	s_or_b64 exec, exec, s[0:1]
	v_cmp_lt_u32_e32 vcc, 3, v0
	s_barrier
	ds_write_b32 v4, v2
	;; [unrolled: 23-line block ×3, first 2 shown]
	s_waitcnt lgkmcnt(0)
	s_barrier
	s_and_saveexec_b64 s[0:1], vcc
	s_cbranch_execz .LBB40_21
; %bb.18:
	v_subrev_u32_e32 v5, 32, v1
	ds_read_b32 v5, v5
	s_waitcnt lgkmcnt(0)
	v_cmp_eq_u32_e32 vcc, v3, v5
	s_and_saveexec_b64 s[6:7], vcc
	s_cbranch_execz .LBB40_20
; %bb.19:
	v_subrev_u32_e32 v5, 32, v4
	ds_read_b32 v5, v5
	s_waitcnt lgkmcnt(0)
	v_add_f32_e32 v2, v2, v5
.LBB40_20:
	s_or_b64 exec, exec, s[6:7]
.LBB40_21:
	s_or_b64 exec, exec, s[0:1]
	v_cmp_lt_u32_e32 vcc, 15, v0
	s_barrier
	ds_write_b32 v4, v2
	s_waitcnt lgkmcnt(0)
	s_barrier
	s_and_saveexec_b64 s[0:1], vcc
	s_cbranch_execz .LBB40_25
; %bb.22:
	v_subrev_u32_e32 v5, 64, v1
	ds_read_b32 v5, v5
	s_waitcnt lgkmcnt(0)
	v_cmp_eq_u32_e32 vcc, v3, v5
	s_and_saveexec_b64 s[6:7], vcc
	s_cbranch_execz .LBB40_24
; %bb.23:
	v_subrev_u32_e32 v5, 64, v4
	ds_read_b32 v5, v5
	s_waitcnt lgkmcnt(0)
	v_add_f32_e32 v2, v2, v5
.LBB40_24:
	s_or_b64 exec, exec, s[6:7]
.LBB40_25:
	s_or_b64 exec, exec, s[0:1]
	v_cmp_lt_u32_e32 vcc, 31, v0
	s_barrier
	ds_write_b32 v4, v2
	s_waitcnt lgkmcnt(0)
	s_barrier
	s_and_saveexec_b64 s[0:1], vcc
	s_cbranch_execz .LBB40_29
; %bb.26:
	v_add_u32_e32 v5, 0xffffff80, v1
	ds_read_b32 v5, v5
	s_waitcnt lgkmcnt(0)
	v_cmp_eq_u32_e32 vcc, v3, v5
	s_and_saveexec_b64 s[6:7], vcc
	s_cbranch_execz .LBB40_28
; %bb.27:
	v_add_u32_e32 v5, 0xffffff80, v4
	ds_read_b32 v5, v5
	s_waitcnt lgkmcnt(0)
	v_add_f32_e32 v2, v2, v5
.LBB40_28:
	s_or_b64 exec, exec, s[6:7]
.LBB40_29:
	s_or_b64 exec, exec, s[0:1]
	v_cmp_lt_u32_e32 vcc, 63, v0
	s_barrier
	ds_write_b32 v4, v2
	s_waitcnt lgkmcnt(0)
	s_barrier
	s_and_saveexec_b64 s[0:1], vcc
	s_cbranch_execz .LBB40_33
; %bb.30:
	v_add_u32_e32 v5, 0xffffff00, v1
	ds_read_b32 v5, v5
	s_waitcnt lgkmcnt(0)
	v_cmp_eq_u32_e32 vcc, v3, v5
	s_and_saveexec_b64 s[6:7], vcc
	s_cbranch_execz .LBB40_32
; %bb.31:
	v_add_u32_e32 v5, 0xffffff00, v4
	ds_read_b32 v5, v5
	s_waitcnt lgkmcnt(0)
	v_add_f32_e32 v2, v2, v5
.LBB40_32:
	s_or_b64 exec, exec, s[6:7]
.LBB40_33:
	s_or_b64 exec, exec, s[0:1]
	s_load_dwordx2 s[4:5], s[4:5], 0x28
	s_movk_i32 s0, 0x7f
	v_cmp_lt_u32_e32 vcc, s0, v0
	s_waitcnt lgkmcnt(0)
	s_barrier
	ds_write_b32 v4, v2
	s_waitcnt lgkmcnt(0)
	s_barrier
	s_and_saveexec_b64 s[0:1], vcc
	s_cbranch_execz .LBB40_37
; %bb.34:
	v_add_u32_e32 v5, 0xfffffe00, v1
	ds_read_b32 v5, v5
	s_waitcnt lgkmcnt(0)
	v_cmp_eq_u32_e32 vcc, v3, v5
	s_and_saveexec_b64 s[6:7], vcc
	s_cbranch_execz .LBB40_36
; %bb.35:
	v_add_u32_e32 v5, 0xfffffe00, v4
	ds_read_b32 v5, v5
	s_waitcnt lgkmcnt(0)
	v_add_f32_e32 v2, v2, v5
.LBB40_36:
	s_or_b64 exec, exec, s[6:7]
.LBB40_37:
	s_or_b64 exec, exec, s[0:1]
	s_movk_i32 s3, 0xff
	v_cmp_gt_u32_e32 vcc, s3, v0
	s_barrier
	ds_write_b32 v4, v2
	s_waitcnt lgkmcnt(0)
	s_barrier
	s_and_saveexec_b64 s[6:7], vcc
	s_cbranch_execz .LBB40_41
; %bb.38:
	ds_read_b32 v1, v1 offset:4
	v_cmp_lt_i32_e64 s[0:1], -1, v3
	s_waitcnt lgkmcnt(0)
	v_cmp_ne_u32_e32 vcc, v3, v1
	s_and_b64 s[0:1], s[0:1], vcc
	s_and_b64 exec, exec, s[0:1]
	s_cbranch_execz .LBB40_41
; %bb.39:
	v_mov_b32_e32 v4, 0
	v_lshlrev_b64 v[4:5], 2, v[3:4]
	v_mov_b32_e32 v1, s5
	v_add_co_u32_e32 v4, vcc, s4, v4
	v_addc_co_u32_e32 v5, vcc, v1, v5, vcc
	global_load_dword v7, v[4:5], off
	v_mul_f32_e32 v1, s2, v2
	s_mov_b64 s[0:1], 0
.LBB40_40:                              ; =>This Inner Loop Header: Depth=1
	s_waitcnt vmcnt(0)
	v_add_f32_e32 v6, v7, v1
	global_atomic_cmpswap v6, v[4:5], v[6:7], off glc
	s_waitcnt vmcnt(0)
	v_cmp_eq_u32_e32 vcc, v6, v7
	s_or_b64 s[0:1], vcc, s[0:1]
	v_mov_b32_e32 v7, v6
	s_andn2_b64 exec, exec, s[0:1]
	s_cbranch_execnz .LBB40_40
.LBB40_41:
	s_or_b64 exec, exec, s[6:7]
	v_cmp_eq_u32_e32 vcc, s3, v0
	v_cmp_lt_i32_e64 s[0:1], -1, v3
	s_and_b64 s[0:1], vcc, s[0:1]
	s_and_saveexec_b64 s[6:7], s[0:1]
	s_cbranch_execz .LBB40_44
; %bb.42:
	v_mov_b32_e32 v4, 0
	v_lshlrev_b64 v[0:1], 2, v[3:4]
	v_mov_b32_e32 v3, s5
	v_add_co_u32_e32 v0, vcc, s4, v0
	v_addc_co_u32_e32 v1, vcc, v3, v1, vcc
	global_load_dword v3, v[0:1], off
	v_mul_f32_e32 v4, s2, v2
	s_mov_b64 s[0:1], 0
.LBB40_43:                              ; =>This Inner Loop Header: Depth=1
	s_waitcnt vmcnt(0)
	v_add_f32_e32 v2, v3, v4
	global_atomic_cmpswap v2, v[0:1], v[2:3], off glc
	s_waitcnt vmcnt(0)
	v_cmp_eq_u32_e32 vcc, v2, v3
	s_or_b64 s[0:1], vcc, s[0:1]
	v_mov_b32_e32 v3, v2
	s_andn2_b64 exec, exec, s[0:1]
	s_cbranch_execnz .LBB40_43
.LBB40_44:
	s_endpgm
	.section	.rodata,"a",@progbits
	.p2align	6, 0x0
	.amdhsa_kernel _ZN9rocsparseL23coomvn_aos_atomic_loopsILj256ELj1EiaaffEEvlNS_24const_host_device_scalarIT5_EEPKT1_PKT2_PKT3_PT4_21rocsparse_index_base_b
		.amdhsa_group_segment_fixed_size 2048
		.amdhsa_private_segment_fixed_size 0
		.amdhsa_kernarg_size 56
		.amdhsa_user_sgpr_count 6
		.amdhsa_user_sgpr_private_segment_buffer 1
		.amdhsa_user_sgpr_dispatch_ptr 0
		.amdhsa_user_sgpr_queue_ptr 0
		.amdhsa_user_sgpr_kernarg_segment_ptr 1
		.amdhsa_user_sgpr_dispatch_id 0
		.amdhsa_user_sgpr_flat_scratch_init 0
		.amdhsa_user_sgpr_private_segment_size 0
		.amdhsa_uses_dynamic_stack 0
		.amdhsa_system_sgpr_private_segment_wavefront_offset 0
		.amdhsa_system_sgpr_workgroup_id_x 1
		.amdhsa_system_sgpr_workgroup_id_y 0
		.amdhsa_system_sgpr_workgroup_id_z 0
		.amdhsa_system_sgpr_workgroup_info 0
		.amdhsa_system_vgpr_workitem_id 0
		.amdhsa_next_free_vgpr 8
		.amdhsa_next_free_sgpr 16
		.amdhsa_reserve_vcc 1
		.amdhsa_reserve_flat_scratch 0
		.amdhsa_float_round_mode_32 0
		.amdhsa_float_round_mode_16_64 0
		.amdhsa_float_denorm_mode_32 3
		.amdhsa_float_denorm_mode_16_64 3
		.amdhsa_dx10_clamp 1
		.amdhsa_ieee_mode 1
		.amdhsa_fp16_overflow 0
		.amdhsa_exception_fp_ieee_invalid_op 0
		.amdhsa_exception_fp_denorm_src 0
		.amdhsa_exception_fp_ieee_div_zero 0
		.amdhsa_exception_fp_ieee_overflow 0
		.amdhsa_exception_fp_ieee_underflow 0
		.amdhsa_exception_fp_ieee_inexact 0
		.amdhsa_exception_int_div_zero 0
	.end_amdhsa_kernel
	.section	.text._ZN9rocsparseL23coomvn_aos_atomic_loopsILj256ELj1EiaaffEEvlNS_24const_host_device_scalarIT5_EEPKT1_PKT2_PKT3_PT4_21rocsparse_index_base_b,"axG",@progbits,_ZN9rocsparseL23coomvn_aos_atomic_loopsILj256ELj1EiaaffEEvlNS_24const_host_device_scalarIT5_EEPKT1_PKT2_PKT3_PT4_21rocsparse_index_base_b,comdat
.Lfunc_end40:
	.size	_ZN9rocsparseL23coomvn_aos_atomic_loopsILj256ELj1EiaaffEEvlNS_24const_host_device_scalarIT5_EEPKT1_PKT2_PKT3_PT4_21rocsparse_index_base_b, .Lfunc_end40-_ZN9rocsparseL23coomvn_aos_atomic_loopsILj256ELj1EiaaffEEvlNS_24const_host_device_scalarIT5_EEPKT1_PKT2_PKT3_PT4_21rocsparse_index_base_b
                                        ; -- End function
	.set _ZN9rocsparseL23coomvn_aos_atomic_loopsILj256ELj1EiaaffEEvlNS_24const_host_device_scalarIT5_EEPKT1_PKT2_PKT3_PT4_21rocsparse_index_base_b.num_vgpr, 8
	.set _ZN9rocsparseL23coomvn_aos_atomic_loopsILj256ELj1EiaaffEEvlNS_24const_host_device_scalarIT5_EEPKT1_PKT2_PKT3_PT4_21rocsparse_index_base_b.num_agpr, 0
	.set _ZN9rocsparseL23coomvn_aos_atomic_loopsILj256ELj1EiaaffEEvlNS_24const_host_device_scalarIT5_EEPKT1_PKT2_PKT3_PT4_21rocsparse_index_base_b.numbered_sgpr, 16
	.set _ZN9rocsparseL23coomvn_aos_atomic_loopsILj256ELj1EiaaffEEvlNS_24const_host_device_scalarIT5_EEPKT1_PKT2_PKT3_PT4_21rocsparse_index_base_b.num_named_barrier, 0
	.set _ZN9rocsparseL23coomvn_aos_atomic_loopsILj256ELj1EiaaffEEvlNS_24const_host_device_scalarIT5_EEPKT1_PKT2_PKT3_PT4_21rocsparse_index_base_b.private_seg_size, 0
	.set _ZN9rocsparseL23coomvn_aos_atomic_loopsILj256ELj1EiaaffEEvlNS_24const_host_device_scalarIT5_EEPKT1_PKT2_PKT3_PT4_21rocsparse_index_base_b.uses_vcc, 1
	.set _ZN9rocsparseL23coomvn_aos_atomic_loopsILj256ELj1EiaaffEEvlNS_24const_host_device_scalarIT5_EEPKT1_PKT2_PKT3_PT4_21rocsparse_index_base_b.uses_flat_scratch, 0
	.set _ZN9rocsparseL23coomvn_aos_atomic_loopsILj256ELj1EiaaffEEvlNS_24const_host_device_scalarIT5_EEPKT1_PKT2_PKT3_PT4_21rocsparse_index_base_b.has_dyn_sized_stack, 0
	.set _ZN9rocsparseL23coomvn_aos_atomic_loopsILj256ELj1EiaaffEEvlNS_24const_host_device_scalarIT5_EEPKT1_PKT2_PKT3_PT4_21rocsparse_index_base_b.has_recursion, 0
	.set _ZN9rocsparseL23coomvn_aos_atomic_loopsILj256ELj1EiaaffEEvlNS_24const_host_device_scalarIT5_EEPKT1_PKT2_PKT3_PT4_21rocsparse_index_base_b.has_indirect_call, 0
	.section	.AMDGPU.csdata,"",@progbits
; Kernel info:
; codeLenInByte = 1236
; TotalNumSgprs: 20
; NumVgprs: 8
; ScratchSize: 0
; MemoryBound: 0
; FloatMode: 240
; IeeeMode: 1
; LDSByteSize: 2048 bytes/workgroup (compile time only)
; SGPRBlocks: 2
; VGPRBlocks: 1
; NumSGPRsForWavesPerEU: 20
; NumVGPRsForWavesPerEU: 8
; Occupancy: 10
; WaveLimiterHint : 1
; COMPUTE_PGM_RSRC2:SCRATCH_EN: 0
; COMPUTE_PGM_RSRC2:USER_SGPR: 6
; COMPUTE_PGM_RSRC2:TRAP_HANDLER: 0
; COMPUTE_PGM_RSRC2:TGID_X_EN: 1
; COMPUTE_PGM_RSRC2:TGID_Y_EN: 0
; COMPUTE_PGM_RSRC2:TGID_Z_EN: 0
; COMPUTE_PGM_RSRC2:TIDIG_COMP_CNT: 0
	.section	.text._ZN9rocsparseL17coomvt_aos_kernelILj1024EiaaffEEv20rocsparse_operation_lNS_24const_host_device_scalarIT4_EEPKT0_PKT1_PKT2_PT3_21rocsparse_index_base_b,"axG",@progbits,_ZN9rocsparseL17coomvt_aos_kernelILj1024EiaaffEEv20rocsparse_operation_lNS_24const_host_device_scalarIT4_EEPKT0_PKT1_PKT2_PT3_21rocsparse_index_base_b,comdat
	.globl	_ZN9rocsparseL17coomvt_aos_kernelILj1024EiaaffEEv20rocsparse_operation_lNS_24const_host_device_scalarIT4_EEPKT0_PKT1_PKT2_PT3_21rocsparse_index_base_b ; -- Begin function _ZN9rocsparseL17coomvt_aos_kernelILj1024EiaaffEEv20rocsparse_operation_lNS_24const_host_device_scalarIT4_EEPKT0_PKT1_PKT2_PT3_21rocsparse_index_base_b
	.p2align	8
	.type	_ZN9rocsparseL17coomvt_aos_kernelILj1024EiaaffEEv20rocsparse_operation_lNS_24const_host_device_scalarIT4_EEPKT0_PKT1_PKT2_PT3_21rocsparse_index_base_b,@function
_ZN9rocsparseL17coomvt_aos_kernelILj1024EiaaffEEv20rocsparse_operation_lNS_24const_host_device_scalarIT4_EEPKT0_PKT1_PKT2_PT3_21rocsparse_index_base_b: ; @_ZN9rocsparseL17coomvt_aos_kernelILj1024EiaaffEEv20rocsparse_operation_lNS_24const_host_device_scalarIT4_EEPKT0_PKT1_PKT2_PT3_21rocsparse_index_base_b
; %bb.0:
	s_load_dwordx2 s[16:17], s[4:5], 0x38
	s_load_dwordx4 s[0:3], s[4:5], 0x8
	s_waitcnt lgkmcnt(0)
	s_bitcmp1_b32 s17, 0
	s_cselect_b64 s[8:9], -1, 0
	s_and_b64 vcc, exec, s[8:9]
	s_cbranch_vccnz .LBB41_2
; %bb.1:
	s_load_dword s2, s[2:3], 0x0
.LBB41_2:
	s_waitcnt lgkmcnt(0)
	v_cmp_eq_f32_e64 s[8:9], s2, 0
	s_and_b64 vcc, exec, s[8:9]
	s_cbranch_vccnz .LBB41_6
; %bb.3:
	s_load_dword s3, s[4:5], 0x4c
	v_mov_b32_e32 v1, 0
	s_waitcnt lgkmcnt(0)
	s_and_b32 s3, s3, 0xffff
	s_mul_i32 s6, s6, s3
	v_add_u32_e32 v0, s6, v0
	v_cmp_gt_i64_e32 vcc, s[0:1], v[0:1]
	s_and_saveexec_b64 s[0:1], vcc
	s_cbranch_execz .LBB41_6
; %bb.4:
	s_load_dwordx8 s[8:15], s[4:5], 0x18
	v_lshlrev_b64 v[1:2], 3, v[0:1]
	s_mov_b64 s[0:1], 0
	s_waitcnt lgkmcnt(0)
	v_mov_b32_e32 v3, s9
	v_add_co_u32_e32 v1, vcc, s8, v1
	v_addc_co_u32_e32 v2, vcc, v3, v2, vcc
	global_load_dwordx2 v[1:2], v[1:2], off
	v_mov_b32_e32 v4, s11
	v_add_co_u32_e32 v3, vcc, s10, v0
	v_addc_co_u32_e32 v4, vcc, 0, v4, vcc
	global_load_sbyte v4, v[3:4], off
	v_mov_b32_e32 v6, s13
	v_mov_b32_e32 v5, s15
	s_waitcnt vmcnt(1)
	v_subrev_u32_e32 v3, s16, v1
	v_subrev_u32_e32 v0, s16, v2
	v_ashrrev_i32_e32 v7, 31, v3
	v_add_co_u32_e32 v2, vcc, s12, v3
	v_addc_co_u32_e32 v3, vcc, v6, v7, vcc
	v_ashrrev_i32_e32 v1, 31, v0
	global_load_sbyte v2, v[2:3], off
	v_lshlrev_b64 v[0:1], 2, v[0:1]
	s_waitcnt vmcnt(1)
	v_cvt_f32_i32_e32 v4, v4
	v_add_co_u32_e32 v0, vcc, s14, v0
	v_addc_co_u32_e32 v1, vcc, v5, v1, vcc
	global_load_dword v3, v[0:1], off
	v_mul_f32_e32 v4, s2, v4
	s_waitcnt vmcnt(1)
	v_cvt_f32_i32_e32 v2, v2
	v_mul_f32_e32 v4, v4, v2
.LBB41_5:                               ; =>This Inner Loop Header: Depth=1
	s_waitcnt vmcnt(0)
	v_add_f32_e32 v2, v3, v4
	global_atomic_cmpswap v2, v[0:1], v[2:3], off glc
	s_waitcnt vmcnt(0)
	v_cmp_eq_u32_e32 vcc, v2, v3
	s_or_b64 s[0:1], vcc, s[0:1]
	v_mov_b32_e32 v3, v2
	s_andn2_b64 exec, exec, s[0:1]
	s_cbranch_execnz .LBB41_5
.LBB41_6:
	s_endpgm
	.section	.rodata,"a",@progbits
	.p2align	6, 0x0
	.amdhsa_kernel _ZN9rocsparseL17coomvt_aos_kernelILj1024EiaaffEEv20rocsparse_operation_lNS_24const_host_device_scalarIT4_EEPKT0_PKT1_PKT2_PT3_21rocsparse_index_base_b
		.amdhsa_group_segment_fixed_size 0
		.amdhsa_private_segment_fixed_size 0
		.amdhsa_kernarg_size 320
		.amdhsa_user_sgpr_count 6
		.amdhsa_user_sgpr_private_segment_buffer 1
		.amdhsa_user_sgpr_dispatch_ptr 0
		.amdhsa_user_sgpr_queue_ptr 0
		.amdhsa_user_sgpr_kernarg_segment_ptr 1
		.amdhsa_user_sgpr_dispatch_id 0
		.amdhsa_user_sgpr_flat_scratch_init 0
		.amdhsa_user_sgpr_private_segment_size 0
		.amdhsa_uses_dynamic_stack 0
		.amdhsa_system_sgpr_private_segment_wavefront_offset 0
		.amdhsa_system_sgpr_workgroup_id_x 1
		.amdhsa_system_sgpr_workgroup_id_y 0
		.amdhsa_system_sgpr_workgroup_id_z 0
		.amdhsa_system_sgpr_workgroup_info 0
		.amdhsa_system_vgpr_workitem_id 0
		.amdhsa_next_free_vgpr 8
		.amdhsa_next_free_sgpr 18
		.amdhsa_reserve_vcc 1
		.amdhsa_reserve_flat_scratch 0
		.amdhsa_float_round_mode_32 0
		.amdhsa_float_round_mode_16_64 0
		.amdhsa_float_denorm_mode_32 3
		.amdhsa_float_denorm_mode_16_64 3
		.amdhsa_dx10_clamp 1
		.amdhsa_ieee_mode 1
		.amdhsa_fp16_overflow 0
		.amdhsa_exception_fp_ieee_invalid_op 0
		.amdhsa_exception_fp_denorm_src 0
		.amdhsa_exception_fp_ieee_div_zero 0
		.amdhsa_exception_fp_ieee_overflow 0
		.amdhsa_exception_fp_ieee_underflow 0
		.amdhsa_exception_fp_ieee_inexact 0
		.amdhsa_exception_int_div_zero 0
	.end_amdhsa_kernel
	.section	.text._ZN9rocsparseL17coomvt_aos_kernelILj1024EiaaffEEv20rocsparse_operation_lNS_24const_host_device_scalarIT4_EEPKT0_PKT1_PKT2_PT3_21rocsparse_index_base_b,"axG",@progbits,_ZN9rocsparseL17coomvt_aos_kernelILj1024EiaaffEEv20rocsparse_operation_lNS_24const_host_device_scalarIT4_EEPKT0_PKT1_PKT2_PT3_21rocsparse_index_base_b,comdat
.Lfunc_end41:
	.size	_ZN9rocsparseL17coomvt_aos_kernelILj1024EiaaffEEv20rocsparse_operation_lNS_24const_host_device_scalarIT4_EEPKT0_PKT1_PKT2_PT3_21rocsparse_index_base_b, .Lfunc_end41-_ZN9rocsparseL17coomvt_aos_kernelILj1024EiaaffEEv20rocsparse_operation_lNS_24const_host_device_scalarIT4_EEPKT0_PKT1_PKT2_PT3_21rocsparse_index_base_b
                                        ; -- End function
	.set _ZN9rocsparseL17coomvt_aos_kernelILj1024EiaaffEEv20rocsparse_operation_lNS_24const_host_device_scalarIT4_EEPKT0_PKT1_PKT2_PT3_21rocsparse_index_base_b.num_vgpr, 8
	.set _ZN9rocsparseL17coomvt_aos_kernelILj1024EiaaffEEv20rocsparse_operation_lNS_24const_host_device_scalarIT4_EEPKT0_PKT1_PKT2_PT3_21rocsparse_index_base_b.num_agpr, 0
	.set _ZN9rocsparseL17coomvt_aos_kernelILj1024EiaaffEEv20rocsparse_operation_lNS_24const_host_device_scalarIT4_EEPKT0_PKT1_PKT2_PT3_21rocsparse_index_base_b.numbered_sgpr, 18
	.set _ZN9rocsparseL17coomvt_aos_kernelILj1024EiaaffEEv20rocsparse_operation_lNS_24const_host_device_scalarIT4_EEPKT0_PKT1_PKT2_PT3_21rocsparse_index_base_b.num_named_barrier, 0
	.set _ZN9rocsparseL17coomvt_aos_kernelILj1024EiaaffEEv20rocsparse_operation_lNS_24const_host_device_scalarIT4_EEPKT0_PKT1_PKT2_PT3_21rocsparse_index_base_b.private_seg_size, 0
	.set _ZN9rocsparseL17coomvt_aos_kernelILj1024EiaaffEEv20rocsparse_operation_lNS_24const_host_device_scalarIT4_EEPKT0_PKT1_PKT2_PT3_21rocsparse_index_base_b.uses_vcc, 1
	.set _ZN9rocsparseL17coomvt_aos_kernelILj1024EiaaffEEv20rocsparse_operation_lNS_24const_host_device_scalarIT4_EEPKT0_PKT1_PKT2_PT3_21rocsparse_index_base_b.uses_flat_scratch, 0
	.set _ZN9rocsparseL17coomvt_aos_kernelILj1024EiaaffEEv20rocsparse_operation_lNS_24const_host_device_scalarIT4_EEPKT0_PKT1_PKT2_PT3_21rocsparse_index_base_b.has_dyn_sized_stack, 0
	.set _ZN9rocsparseL17coomvt_aos_kernelILj1024EiaaffEEv20rocsparse_operation_lNS_24const_host_device_scalarIT4_EEPKT0_PKT1_PKT2_PT3_21rocsparse_index_base_b.has_recursion, 0
	.set _ZN9rocsparseL17coomvt_aos_kernelILj1024EiaaffEEv20rocsparse_operation_lNS_24const_host_device_scalarIT4_EEPKT0_PKT1_PKT2_PT3_21rocsparse_index_base_b.has_indirect_call, 0
	.section	.AMDGPU.csdata,"",@progbits
; Kernel info:
; codeLenInByte = 308
; TotalNumSgprs: 22
; NumVgprs: 8
; ScratchSize: 0
; MemoryBound: 0
; FloatMode: 240
; IeeeMode: 1
; LDSByteSize: 0 bytes/workgroup (compile time only)
; SGPRBlocks: 2
; VGPRBlocks: 1
; NumSGPRsForWavesPerEU: 22
; NumVGPRsForWavesPerEU: 8
; Occupancy: 10
; WaveLimiterHint : 1
; COMPUTE_PGM_RSRC2:SCRATCH_EN: 0
; COMPUTE_PGM_RSRC2:USER_SGPR: 6
; COMPUTE_PGM_RSRC2:TRAP_HANDLER: 0
; COMPUTE_PGM_RSRC2:TGID_X_EN: 1
; COMPUTE_PGM_RSRC2:TGID_Y_EN: 0
; COMPUTE_PGM_RSRC2:TGID_Z_EN: 0
; COMPUTE_PGM_RSRC2:TIDIG_COMP_CNT: 0
	.section	.text._ZN9rocsparseL26coomvn_aos_segmented_loopsILj256EiaaffEEvlT0_NS_24const_host_device_scalarIT4_EEPKS1_PKT1_PKT2_PT3_PS1_PS3_21rocsparse_index_base_b,"axG",@progbits,_ZN9rocsparseL26coomvn_aos_segmented_loopsILj256EiaaffEEvlT0_NS_24const_host_device_scalarIT4_EEPKS1_PKT1_PKT2_PT3_PS1_PS3_21rocsparse_index_base_b,comdat
	.globl	_ZN9rocsparseL26coomvn_aos_segmented_loopsILj256EiaaffEEvlT0_NS_24const_host_device_scalarIT4_EEPKS1_PKT1_PKT2_PT3_PS1_PS3_21rocsparse_index_base_b ; -- Begin function _ZN9rocsparseL26coomvn_aos_segmented_loopsILj256EiaaffEEvlT0_NS_24const_host_device_scalarIT4_EEPKS1_PKT1_PKT2_PT3_PS1_PS3_21rocsparse_index_base_b
	.p2align	8
	.type	_ZN9rocsparseL26coomvn_aos_segmented_loopsILj256EiaaffEEvlT0_NS_24const_host_device_scalarIT4_EEPKS1_PKT1_PKT2_PT3_PS1_PS3_21rocsparse_index_base_b,@function
_ZN9rocsparseL26coomvn_aos_segmented_loopsILj256EiaaffEEvlT0_NS_24const_host_device_scalarIT4_EEPKS1_PKT1_PKT2_PT3_PS1_PS3_21rocsparse_index_base_b: ; @_ZN9rocsparseL26coomvn_aos_segmented_loopsILj256EiaaffEEvlT0_NS_24const_host_device_scalarIT4_EEPKS1_PKT1_PKT2_PT3_PS1_PS3_21rocsparse_index_base_b
; %bb.0:
	s_load_dwordx2 s[36:37], s[4:5], 0x48
	s_load_dwordx2 s[34:35], s[4:5], 0x10
	s_waitcnt lgkmcnt(0)
	s_bitcmp1_b32 s37, 0
	s_cselect_b64 s[0:1], -1, 0
	s_and_b64 vcc, exec, s[0:1]
	s_cbranch_vccnz .LBB42_2
; %bb.1:
	s_load_dword s34, s[34:35], 0x0
.LBB42_2:
	s_waitcnt lgkmcnt(0)
	v_cmp_eq_f32_e64 s[0:1], s34, 0
	s_and_b64 vcc, exec, s[0:1]
	s_cbranch_vccnz .LBB42_89
; %bb.3:
	s_load_dword s35, s[4:5], 0x8
	s_load_dwordx2 s[38:39], s[4:5], 0x0
	s_load_dwordx4 s[28:31], s[4:5], 0x18
	s_load_dwordx2 s[42:43], s[4:5], 0x28
	v_mov_b32_e32 v2, 0
	s_waitcnt lgkmcnt(0)
	s_mul_i32 s0, s6, s35
	v_lshl_or_b32 v1, s0, 8, v0
	v_cmp_gt_i64_e32 vcc, s[38:39], v[1:2]
	v_lshlrev_b64 v[7:8], 3, v[1:2]
	v_mov_b32_e32 v3, -1
	s_and_saveexec_b64 s[0:1], vcc
	s_cbranch_execz .LBB42_5
; %bb.4:
	v_mov_b32_e32 v3, s29
	v_add_co_u32_e32 v2, vcc, s28, v7
	v_addc_co_u32_e32 v3, vcc, v3, v8, vcc
	global_load_dwordx2 v[2:3], v[2:3], off glc slc
	v_mov_b32_e32 v5, s31
	v_add_co_u32_e32 v4, vcc, s30, v1
	s_ashr_i32 s2, s36, 31
	v_addc_co_u32_e32 v5, vcc, 0, v5, vcc
	v_mov_b32_e32 v6, s43
	s_sub_u32 s3, 0, s36
	s_subb_u32 s2, 0, s2
	global_load_sbyte v5, v[4:5], off glc slc
	v_mov_b32_e32 v4, s2
	s_waitcnt vmcnt(1)
	v_ashrrev_i32_e32 v9, 31, v3
	v_add_co_u32_e32 v3, vcc, s42, v3
	v_addc_co_u32_e32 v6, vcc, v6, v9, vcc
	v_add_co_u32_e32 v3, vcc, s3, v3
	v_addc_co_u32_e32 v4, vcc, v6, v4, vcc
	global_load_sbyte v3, v[3:4], off
	s_waitcnt vmcnt(1)
	v_cvt_f32_i32_e32 v4, v5
	s_waitcnt vmcnt(0)
	v_cvt_f32_i32_e32 v5, v3
	v_subrev_u32_e32 v3, s36, v2
	v_mul_f32_e32 v2, v4, v5
.LBB42_5:
	s_or_b64 exec, exec, s[0:1]
	v_lshlrev_b32_e32 v9, 2, v0
	v_or_b32_e32 v10, 0x400, v9
	v_cmp_eq_u32_e64 s[0:1], 0, v0
	v_cmp_ne_u32_e64 s[2:3], 0, v0
	v_add_u32_e32 v11, -4, v9
	ds_write2st64_b32 v9, v3, v2 offset1:4
	s_waitcnt lgkmcnt(0)
	s_barrier
	s_and_saveexec_b64 s[8:9], s[2:3]
	s_cbranch_execz .LBB42_9
; %bb.6:
	ds_read_b32 v4, v11
	s_waitcnt lgkmcnt(0)
	v_cmp_eq_u32_e32 vcc, v3, v4
	s_and_saveexec_b64 s[10:11], vcc
	s_cbranch_execz .LBB42_8
; %bb.7:
	v_add_u32_e32 v4, -4, v10
	ds_read_b32 v4, v4
	s_waitcnt lgkmcnt(0)
	v_add_f32_e32 v2, v2, v4
.LBB42_8:
	s_or_b64 exec, exec, s[10:11]
.LBB42_9:
	s_or_b64 exec, exec, s[8:9]
	v_cmp_lt_u32_e64 s[22:23], 1, v0
	v_add_u32_e32 v12, -8, v9
	s_barrier
	ds_write_b32 v10, v2
	s_waitcnt lgkmcnt(0)
	s_barrier
	s_and_saveexec_b64 s[8:9], s[22:23]
	s_cbranch_execz .LBB42_13
; %bb.10:
	ds_read_b32 v4, v12
	s_waitcnt lgkmcnt(0)
	v_cmp_eq_u32_e32 vcc, v3, v4
	s_and_saveexec_b64 s[10:11], vcc
	s_cbranch_execz .LBB42_12
; %bb.11:
	v_add_u32_e32 v4, -8, v10
	ds_read_b32 v4, v4
	s_waitcnt lgkmcnt(0)
	v_add_f32_e32 v2, v2, v4
.LBB42_12:
	s_or_b64 exec, exec, s[10:11]
.LBB42_13:
	s_or_b64 exec, exec, s[8:9]
	v_cmp_lt_u32_e64 s[8:9], 3, v0
	v_add_u32_e32 v13, -16, v9
	s_barrier
	ds_write_b32 v10, v2
	s_waitcnt lgkmcnt(0)
	s_barrier
	s_and_saveexec_b64 s[10:11], s[8:9]
	s_cbranch_execz .LBB42_17
; %bb.14:
	ds_read_b32 v4, v13
	s_waitcnt lgkmcnt(0)
	v_cmp_eq_u32_e32 vcc, v3, v4
	s_and_saveexec_b64 s[12:13], vcc
	s_cbranch_execz .LBB42_16
; %bb.15:
	v_add_u32_e32 v4, -16, v10
	ds_read_b32 v4, v4
	s_waitcnt lgkmcnt(0)
	v_add_f32_e32 v2, v2, v4
.LBB42_16:
	s_or_b64 exec, exec, s[12:13]
.LBB42_17:
	s_or_b64 exec, exec, s[10:11]
	v_cmp_lt_u32_e64 s[10:11], 7, v0
	v_subrev_u32_e32 v14, 32, v9
	s_barrier
	ds_write_b32 v10, v2
	s_waitcnt lgkmcnt(0)
	s_barrier
	s_and_saveexec_b64 s[12:13], s[10:11]
	s_cbranch_execz .LBB42_21
; %bb.18:
	ds_read_b32 v4, v14
	s_waitcnt lgkmcnt(0)
	v_cmp_eq_u32_e32 vcc, v3, v4
	s_and_saveexec_b64 s[14:15], vcc
	s_cbranch_execz .LBB42_20
; %bb.19:
	v_subrev_u32_e32 v4, 32, v10
	ds_read_b32 v4, v4
	s_waitcnt lgkmcnt(0)
	v_add_f32_e32 v2, v2, v4
.LBB42_20:
	s_or_b64 exec, exec, s[14:15]
.LBB42_21:
	s_or_b64 exec, exec, s[12:13]
	v_cmp_lt_u32_e64 s[12:13], 15, v0
	v_subrev_u32_e32 v15, 64, v9
	s_barrier
	ds_write_b32 v10, v2
	s_waitcnt lgkmcnt(0)
	s_barrier
	s_and_saveexec_b64 s[14:15], s[12:13]
	s_cbranch_execz .LBB42_25
; %bb.22:
	ds_read_b32 v4, v15
	s_waitcnt lgkmcnt(0)
	v_cmp_eq_u32_e32 vcc, v3, v4
	s_and_saveexec_b64 s[16:17], vcc
	s_cbranch_execz .LBB42_24
; %bb.23:
	v_subrev_u32_e32 v4, 64, v10
	ds_read_b32 v4, v4
	s_waitcnt lgkmcnt(0)
	v_add_f32_e32 v2, v2, v4
.LBB42_24:
	s_or_b64 exec, exec, s[16:17]
.LBB42_25:
	s_or_b64 exec, exec, s[14:15]
	v_cmp_lt_u32_e64 s[14:15], 31, v0
	s_barrier
	ds_write_b32 v10, v2
	s_waitcnt lgkmcnt(0)
	s_barrier
	s_and_saveexec_b64 s[16:17], s[14:15]
	s_cbranch_execz .LBB42_29
; %bb.26:
	v_add_u32_e32 v4, 0xffffff80, v9
	ds_read_b32 v4, v4
	s_waitcnt lgkmcnt(0)
	v_cmp_eq_u32_e32 vcc, v3, v4
	s_and_saveexec_b64 s[18:19], vcc
	s_cbranch_execz .LBB42_28
; %bb.27:
	v_add_u32_e32 v4, 0xffffff80, v10
	ds_read_b32 v4, v4
	s_waitcnt lgkmcnt(0)
	v_add_f32_e32 v2, v2, v4
.LBB42_28:
	s_or_b64 exec, exec, s[18:19]
.LBB42_29:
	s_or_b64 exec, exec, s[16:17]
	v_cmp_lt_u32_e64 s[16:17], 63, v0
	s_barrier
	ds_write_b32 v10, v2
	s_waitcnt lgkmcnt(0)
	s_barrier
	s_and_saveexec_b64 s[18:19], s[16:17]
	s_cbranch_execz .LBB42_33
; %bb.30:
	v_add_u32_e32 v4, 0xffffff00, v9
	ds_read_b32 v4, v4
	s_waitcnt lgkmcnt(0)
	v_cmp_eq_u32_e32 vcc, v3, v4
	s_and_saveexec_b64 s[20:21], vcc
	s_cbranch_execz .LBB42_32
; %bb.31:
	v_add_u32_e32 v4, 0xffffff00, v10
	ds_read_b32 v4, v4
	s_waitcnt lgkmcnt(0)
	v_add_f32_e32 v2, v2, v4
.LBB42_32:
	s_or_b64 exec, exec, s[20:21]
.LBB42_33:
	s_or_b64 exec, exec, s[18:19]
	s_load_dwordx2 s[40:41], s[4:5], 0x30
	s_movk_i32 s7, 0x7f
	v_cmp_lt_u32_e64 s[18:19], s7, v0
	s_waitcnt lgkmcnt(0)
	s_barrier
	ds_write_b32 v10, v2
	s_waitcnt lgkmcnt(0)
	s_barrier
	s_and_saveexec_b64 s[20:21], s[18:19]
	s_cbranch_execz .LBB42_37
; %bb.34:
	v_add_u32_e32 v4, 0xfffffe00, v9
	ds_read_b32 v4, v4
	s_waitcnt lgkmcnt(0)
	v_cmp_eq_u32_e32 vcc, v3, v4
	s_and_saveexec_b64 s[24:25], vcc
	s_cbranch_execz .LBB42_36
; %bb.35:
	v_add_u32_e32 v4, 0xfffffe00, v10
	ds_read_b32 v4, v4
	s_waitcnt lgkmcnt(0)
	v_add_f32_e32 v2, v2, v4
.LBB42_36:
	s_or_b64 exec, exec, s[24:25]
.LBB42_37:
	s_or_b64 exec, exec, s[20:21]
	s_movk_i32 s7, 0xff
	v_cmp_gt_u32_e64 s[20:21], s7, v0
	s_barrier
	ds_write_b32 v10, v2
	s_waitcnt lgkmcnt(0)
	s_barrier
	s_and_saveexec_b64 s[26:27], s[20:21]
	s_cbranch_execz .LBB42_40
; %bb.38:
	ds_read_b32 v4, v9 offset:4
	v_cmp_lt_i32_e64 s[24:25], -1, v3
	s_waitcnt lgkmcnt(0)
	v_cmp_ne_u32_e32 vcc, v3, v4
	s_and_b64 s[24:25], s[24:25], vcc
	s_and_b64 exec, exec, s[24:25]
	s_cbranch_execz .LBB42_40
; %bb.39:
	v_mov_b32_e32 v4, 0
	v_lshlrev_b64 v[4:5], 2, v[3:4]
	v_mov_b32_e32 v6, s41
	v_add_co_u32_e32 v4, vcc, s40, v4
	v_addc_co_u32_e32 v5, vcc, v6, v5, vcc
	global_load_dword v6, v[4:5], off
	s_waitcnt vmcnt(0)
	v_fmac_f32_e32 v6, s34, v2
	global_store_dword v[4:5], v6, off
.LBB42_40:
	s_or_b64 exec, exec, s[26:27]
	s_load_dwordx4 s[24:27], s[4:5], 0x38
	s_cmp_lt_i32 s35, 2
	s_cbranch_scc1 .LBB42_87
; %bb.41:
	s_ashr_i32 s4, s36, 31
	s_sub_u32 s5, 0, s36
	s_subb_u32 s4, 0, s4
	s_add_u32 s7, s42, s5
	s_addc_u32 s33, s43, s4
	s_movk_i32 s4, 0x100
	v_add_co_u32_e32 v5, vcc, s4, v1
	v_addc_co_u32_e64 v6, s[4:5], 0, 0, vcc
	v_mov_b32_e32 v1, s29
	v_add_co_u32_e32 v2, vcc, s28, v7
	v_addc_co_u32_e32 v1, vcc, v1, v8, vcc
	s_movk_i32 s4, 0x800
	v_add_co_u32_e32 v7, vcc, s4, v2
	v_add_u32_e32 v16, -16, v10
	v_subrev_u32_e32 v17, 32, v10
	v_subrev_u32_e32 v18, 64, v10
	v_add_u32_e32 v19, 0xffffff80, v9
	v_add_u32_e32 v20, 0xffffff80, v10
	v_add_u32_e32 v21, 0xffffff00, v9
	v_add_u32_e32 v22, 0xffffff00, v10
	v_add_u32_e32 v23, 0xfffffe00, v9
	v_add_u32_e32 v24, 0xfffffe00, v10
	v_addc_co_u32_e32 v8, vcc, 0, v1, vcc
	s_add_i32 s35, s35, -1
	v_mov_b32_e32 v4, 0
	s_mov_b32 s29, 0
	s_branch .LBB42_43
.LBB42_42:                              ;   in Loop: Header=BB42_43 Depth=1
	s_or_b64 exec, exec, s[42:43]
	v_add_co_u32_e32 v5, vcc, 0x100, v5
	v_addc_co_u32_e32 v6, vcc, 0, v6, vcc
	v_add_co_u32_e32 v7, vcc, 0x800, v7
	s_add_i32 s35, s35, -1
	s_cmp_eq_u32 s35, 0
	v_addc_co_u32_e32 v8, vcc, 0, v8, vcc
	s_cbranch_scc1 .LBB42_87
.LBB42_43:                              ; =>This Inner Loop Header: Depth=1
	v_cmp_gt_i64_e32 vcc, s[38:39], v[5:6]
	v_mov_b32_e32 v3, -1
	v_mov_b32_e32 v2, 0
	s_and_saveexec_b64 s[4:5], vcc
	s_cbranch_execz .LBB42_45
; %bb.44:                               ;   in Loop: Header=BB42_43 Depth=1
	global_load_dwordx2 v[1:2], v[7:8], off glc slc
	v_mov_b32_e32 v3, s31
	v_add_co_u32_e32 v25, vcc, s30, v5
	v_addc_co_u32_e32 v26, vcc, v3, v6, vcc
	v_mov_b32_e32 v27, s33
	global_load_sbyte v25, v[25:26], off glc slc
	s_waitcnt vmcnt(1)
	v_ashrrev_i32_e32 v3, 31, v2
	v_add_co_u32_e32 v2, vcc, s7, v2
	v_addc_co_u32_e32 v3, vcc, v27, v3, vcc
	global_load_sbyte v2, v[2:3], off
	v_subrev_u32_e32 v3, s36, v1
	s_waitcnt vmcnt(1)
	v_cvt_f32_i32_e32 v25, v25
	s_waitcnt vmcnt(0)
	v_cvt_f32_i32_e32 v2, v2
	v_mul_f32_e32 v2, v25, v2
.LBB42_45:                              ;   in Loop: Header=BB42_43 Depth=1
	s_or_b64 exec, exec, s[4:5]
	s_and_saveexec_b64 s[4:5], s[0:1]
	s_cbranch_execz .LBB42_52
; %bb.46:                               ;   in Loop: Header=BB42_43 Depth=1
	ds_read_b32 v1, v4 offset:1020
	s_waitcnt lgkmcnt(0)
	v_readfirstlane_b32 s28, v1
	v_cmp_ne_u32_e32 vcc, v3, v1
	s_and_saveexec_b64 s[42:43], vcc
	s_xor_b64 s[42:43], exec, s[42:43]
	s_cbranch_execz .LBB42_49
; %bb.47:                               ;   in Loop: Header=BB42_43 Depth=1
	s_cmp_lt_i32 s28, 0
	s_cbranch_scc1 .LBB42_49
; %bb.48:                               ;   in Loop: Header=BB42_43 Depth=1
	s_lshl_b64 s[44:45], s[28:29], 2
	s_add_u32 s44, s40, s44
	s_addc_u32 s45, s41, s45
	global_load_dword v1, v4, s[44:45]
	ds_read_b32 v25, v4 offset:2044
	s_waitcnt vmcnt(0) lgkmcnt(0)
	v_fmac_f32_e32 v1, s34, v25
	global_store_dword v4, v1, s[44:45]
.LBB42_49:                              ;   in Loop: Header=BB42_43 Depth=1
	s_andn2_saveexec_b64 s[42:43], s[42:43]
	s_cbranch_execz .LBB42_51
; %bb.50:                               ;   in Loop: Header=BB42_43 Depth=1
	ds_read_b32 v1, v4 offset:2044
	s_waitcnt lgkmcnt(0)
	v_add_f32_e32 v2, v2, v1
.LBB42_51:                              ;   in Loop: Header=BB42_43 Depth=1
	s_or_b64 exec, exec, s[42:43]
.LBB42_52:                              ;   in Loop: Header=BB42_43 Depth=1
	s_or_b64 exec, exec, s[4:5]
	s_waitcnt vmcnt(0) lgkmcnt(0)
	s_barrier
	ds_write_b32 v9, v3
	ds_write_b32 v10, v2
	s_waitcnt lgkmcnt(0)
	s_barrier
	s_and_saveexec_b64 s[4:5], s[2:3]
	s_cbranch_execz .LBB42_56
; %bb.53:                               ;   in Loop: Header=BB42_43 Depth=1
	ds_read_b32 v1, v11
	s_waitcnt lgkmcnt(0)
	v_cmp_eq_u32_e32 vcc, v3, v1
	s_and_saveexec_b64 s[42:43], vcc
	s_cbranch_execz .LBB42_55
; %bb.54:                               ;   in Loop: Header=BB42_43 Depth=1
	v_add_u32_e32 v1, -4, v10
	ds_read_b32 v1, v1
	s_waitcnt lgkmcnt(0)
	v_add_f32_e32 v2, v2, v1
.LBB42_55:                              ;   in Loop: Header=BB42_43 Depth=1
	s_or_b64 exec, exec, s[42:43]
.LBB42_56:                              ;   in Loop: Header=BB42_43 Depth=1
	s_or_b64 exec, exec, s[4:5]
	s_barrier
	ds_write_b32 v10, v2
	s_waitcnt lgkmcnt(0)
	s_barrier
	s_and_saveexec_b64 s[4:5], s[22:23]
	s_cbranch_execz .LBB42_60
; %bb.57:                               ;   in Loop: Header=BB42_43 Depth=1
	ds_read_b32 v1, v12
	s_waitcnt lgkmcnt(0)
	v_cmp_eq_u32_e32 vcc, v3, v1
	s_and_saveexec_b64 s[42:43], vcc
	s_cbranch_execz .LBB42_59
; %bb.58:                               ;   in Loop: Header=BB42_43 Depth=1
	v_add_u32_e32 v1, -8, v10
	ds_read_b32 v1, v1
	s_waitcnt lgkmcnt(0)
	v_add_f32_e32 v2, v2, v1
.LBB42_59:                              ;   in Loop: Header=BB42_43 Depth=1
	s_or_b64 exec, exec, s[42:43]
.LBB42_60:                              ;   in Loop: Header=BB42_43 Depth=1
	s_or_b64 exec, exec, s[4:5]
	s_barrier
	ds_write_b32 v10, v2
	s_waitcnt lgkmcnt(0)
	s_barrier
	s_and_saveexec_b64 s[4:5], s[8:9]
	s_cbranch_execz .LBB42_64
; %bb.61:                               ;   in Loop: Header=BB42_43 Depth=1
	ds_read_b32 v1, v13
	s_waitcnt lgkmcnt(0)
	v_cmp_eq_u32_e32 vcc, v3, v1
	s_and_saveexec_b64 s[42:43], vcc
	s_cbranch_execz .LBB42_63
; %bb.62:                               ;   in Loop: Header=BB42_43 Depth=1
	ds_read_b32 v1, v16
	s_waitcnt lgkmcnt(0)
	v_add_f32_e32 v2, v2, v1
.LBB42_63:                              ;   in Loop: Header=BB42_43 Depth=1
	s_or_b64 exec, exec, s[42:43]
.LBB42_64:                              ;   in Loop: Header=BB42_43 Depth=1
	s_or_b64 exec, exec, s[4:5]
	s_barrier
	ds_write_b32 v10, v2
	s_waitcnt lgkmcnt(0)
	s_barrier
	s_and_saveexec_b64 s[4:5], s[10:11]
	s_cbranch_execz .LBB42_68
; %bb.65:                               ;   in Loop: Header=BB42_43 Depth=1
	ds_read_b32 v1, v14
	s_waitcnt lgkmcnt(0)
	v_cmp_eq_u32_e32 vcc, v3, v1
	s_and_saveexec_b64 s[42:43], vcc
	s_cbranch_execz .LBB42_67
; %bb.66:                               ;   in Loop: Header=BB42_43 Depth=1
	ds_read_b32 v1, v17
	s_waitcnt lgkmcnt(0)
	v_add_f32_e32 v2, v2, v1
.LBB42_67:                              ;   in Loop: Header=BB42_43 Depth=1
	s_or_b64 exec, exec, s[42:43]
.LBB42_68:                              ;   in Loop: Header=BB42_43 Depth=1
	;; [unrolled: 20-line block ×6, first 2 shown]
	s_or_b64 exec, exec, s[4:5]
	s_barrier
	ds_write_b32 v10, v2
	s_waitcnt lgkmcnt(0)
	s_barrier
	s_and_saveexec_b64 s[42:43], s[20:21]
	s_cbranch_execz .LBB42_42
; %bb.85:                               ;   in Loop: Header=BB42_43 Depth=1
	ds_read_b32 v1, v9 offset:4
	v_cmp_lt_i32_e64 s[4:5], -1, v3
	s_waitcnt lgkmcnt(0)
	v_cmp_ne_u32_e32 vcc, v3, v1
	s_and_b64 s[4:5], s[4:5], vcc
	s_and_b64 exec, exec, s[4:5]
	s_cbranch_execz .LBB42_42
; %bb.86:                               ;   in Loop: Header=BB42_43 Depth=1
	v_lshlrev_b64 v[25:26], 2, v[3:4]
	v_mov_b32_e32 v1, s41
	v_add_co_u32_e32 v25, vcc, s40, v25
	v_addc_co_u32_e32 v26, vcc, v1, v26, vcc
	global_load_dword v1, v[25:26], off
	s_waitcnt vmcnt(0)
	v_fmac_f32_e32 v1, s34, v2
	global_store_dword v[25:26], v1, off
	s_branch .LBB42_42
.LBB42_87:
	s_movk_i32 s0, 0xff
	v_cmp_eq_u32_e32 vcc, s0, v0
	s_and_saveexec_b64 s[0:1], vcc
	s_cbranch_execz .LBB42_89
; %bb.88:
	s_mov_b32 s7, 0
	s_lshl_b64 s[0:1], s[6:7], 2
	s_waitcnt lgkmcnt(0)
	s_add_u32 s2, s24, s0
	s_addc_u32 s3, s25, s1
	v_mov_b32_e32 v0, 0
	s_add_u32 s0, s26, s0
	v_mul_f32_e32 v1, s34, v2
	s_addc_u32 s1, s27, s1
	global_store_dword v0, v3, s[2:3] glc slc
	global_store_dword v0, v1, s[0:1] glc slc
.LBB42_89:
	s_endpgm
	.section	.rodata,"a",@progbits
	.p2align	6, 0x0
	.amdhsa_kernel _ZN9rocsparseL26coomvn_aos_segmented_loopsILj256EiaaffEEvlT0_NS_24const_host_device_scalarIT4_EEPKS1_PKT1_PKT2_PT3_PS1_PS3_21rocsparse_index_base_b
		.amdhsa_group_segment_fixed_size 2048
		.amdhsa_private_segment_fixed_size 0
		.amdhsa_kernarg_size 80
		.amdhsa_user_sgpr_count 6
		.amdhsa_user_sgpr_private_segment_buffer 1
		.amdhsa_user_sgpr_dispatch_ptr 0
		.amdhsa_user_sgpr_queue_ptr 0
		.amdhsa_user_sgpr_kernarg_segment_ptr 1
		.amdhsa_user_sgpr_dispatch_id 0
		.amdhsa_user_sgpr_flat_scratch_init 0
		.amdhsa_user_sgpr_private_segment_size 0
		.amdhsa_uses_dynamic_stack 0
		.amdhsa_system_sgpr_private_segment_wavefront_offset 0
		.amdhsa_system_sgpr_workgroup_id_x 1
		.amdhsa_system_sgpr_workgroup_id_y 0
		.amdhsa_system_sgpr_workgroup_id_z 0
		.amdhsa_system_sgpr_workgroup_info 0
		.amdhsa_system_vgpr_workitem_id 0
		.amdhsa_next_free_vgpr 28
		.amdhsa_next_free_sgpr 46
		.amdhsa_reserve_vcc 1
		.amdhsa_reserve_flat_scratch 0
		.amdhsa_float_round_mode_32 0
		.amdhsa_float_round_mode_16_64 0
		.amdhsa_float_denorm_mode_32 3
		.amdhsa_float_denorm_mode_16_64 3
		.amdhsa_dx10_clamp 1
		.amdhsa_ieee_mode 1
		.amdhsa_fp16_overflow 0
		.amdhsa_exception_fp_ieee_invalid_op 0
		.amdhsa_exception_fp_denorm_src 0
		.amdhsa_exception_fp_ieee_div_zero 0
		.amdhsa_exception_fp_ieee_overflow 0
		.amdhsa_exception_fp_ieee_underflow 0
		.amdhsa_exception_fp_ieee_inexact 0
		.amdhsa_exception_int_div_zero 0
	.end_amdhsa_kernel
	.section	.text._ZN9rocsparseL26coomvn_aos_segmented_loopsILj256EiaaffEEvlT0_NS_24const_host_device_scalarIT4_EEPKS1_PKT1_PKT2_PT3_PS1_PS3_21rocsparse_index_base_b,"axG",@progbits,_ZN9rocsparseL26coomvn_aos_segmented_loopsILj256EiaaffEEvlT0_NS_24const_host_device_scalarIT4_EEPKS1_PKT1_PKT2_PT3_PS1_PS3_21rocsparse_index_base_b,comdat
.Lfunc_end42:
	.size	_ZN9rocsparseL26coomvn_aos_segmented_loopsILj256EiaaffEEvlT0_NS_24const_host_device_scalarIT4_EEPKS1_PKT1_PKT2_PT3_PS1_PS3_21rocsparse_index_base_b, .Lfunc_end42-_ZN9rocsparseL26coomvn_aos_segmented_loopsILj256EiaaffEEvlT0_NS_24const_host_device_scalarIT4_EEPKS1_PKT1_PKT2_PT3_PS1_PS3_21rocsparse_index_base_b
                                        ; -- End function
	.set _ZN9rocsparseL26coomvn_aos_segmented_loopsILj256EiaaffEEvlT0_NS_24const_host_device_scalarIT4_EEPKS1_PKT1_PKT2_PT3_PS1_PS3_21rocsparse_index_base_b.num_vgpr, 28
	.set _ZN9rocsparseL26coomvn_aos_segmented_loopsILj256EiaaffEEvlT0_NS_24const_host_device_scalarIT4_EEPKS1_PKT1_PKT2_PT3_PS1_PS3_21rocsparse_index_base_b.num_agpr, 0
	.set _ZN9rocsparseL26coomvn_aos_segmented_loopsILj256EiaaffEEvlT0_NS_24const_host_device_scalarIT4_EEPKS1_PKT1_PKT2_PT3_PS1_PS3_21rocsparse_index_base_b.numbered_sgpr, 46
	.set _ZN9rocsparseL26coomvn_aos_segmented_loopsILj256EiaaffEEvlT0_NS_24const_host_device_scalarIT4_EEPKS1_PKT1_PKT2_PT3_PS1_PS3_21rocsparse_index_base_b.num_named_barrier, 0
	.set _ZN9rocsparseL26coomvn_aos_segmented_loopsILj256EiaaffEEvlT0_NS_24const_host_device_scalarIT4_EEPKS1_PKT1_PKT2_PT3_PS1_PS3_21rocsparse_index_base_b.private_seg_size, 0
	.set _ZN9rocsparseL26coomvn_aos_segmented_loopsILj256EiaaffEEvlT0_NS_24const_host_device_scalarIT4_EEPKS1_PKT1_PKT2_PT3_PS1_PS3_21rocsparse_index_base_b.uses_vcc, 1
	.set _ZN9rocsparseL26coomvn_aos_segmented_loopsILj256EiaaffEEvlT0_NS_24const_host_device_scalarIT4_EEPKS1_PKT1_PKT2_PT3_PS1_PS3_21rocsparse_index_base_b.uses_flat_scratch, 0
	.set _ZN9rocsparseL26coomvn_aos_segmented_loopsILj256EiaaffEEvlT0_NS_24const_host_device_scalarIT4_EEPKS1_PKT1_PKT2_PT3_PS1_PS3_21rocsparse_index_base_b.has_dyn_sized_stack, 0
	.set _ZN9rocsparseL26coomvn_aos_segmented_loopsILj256EiaaffEEvlT0_NS_24const_host_device_scalarIT4_EEPKS1_PKT1_PKT2_PT3_PS1_PS3_21rocsparse_index_base_b.has_recursion, 0
	.set _ZN9rocsparseL26coomvn_aos_segmented_loopsILj256EiaaffEEvlT0_NS_24const_host_device_scalarIT4_EEPKS1_PKT1_PKT2_PT3_PS1_PS3_21rocsparse_index_base_b.has_indirect_call, 0
	.section	.AMDGPU.csdata,"",@progbits
; Kernel info:
; codeLenInByte = 2412
; TotalNumSgprs: 50
; NumVgprs: 28
; ScratchSize: 0
; MemoryBound: 0
; FloatMode: 240
; IeeeMode: 1
; LDSByteSize: 2048 bytes/workgroup (compile time only)
; SGPRBlocks: 6
; VGPRBlocks: 6
; NumSGPRsForWavesPerEU: 50
; NumVGPRsForWavesPerEU: 28
; Occupancy: 9
; WaveLimiterHint : 1
; COMPUTE_PGM_RSRC2:SCRATCH_EN: 0
; COMPUTE_PGM_RSRC2:USER_SGPR: 6
; COMPUTE_PGM_RSRC2:TRAP_HANDLER: 0
; COMPUTE_PGM_RSRC2:TGID_X_EN: 1
; COMPUTE_PGM_RSRC2:TGID_Y_EN: 0
; COMPUTE_PGM_RSRC2:TGID_Z_EN: 0
; COMPUTE_PGM_RSRC2:TIDIG_COMP_CNT: 0
	.section	.text._ZN9rocsparseL23coomvn_aos_atomic_loopsILj256ELj1ElaaffEEvlNS_24const_host_device_scalarIT5_EEPKT1_PKT2_PKT3_PT4_21rocsparse_index_base_b,"axG",@progbits,_ZN9rocsparseL23coomvn_aos_atomic_loopsILj256ELj1ElaaffEEvlNS_24const_host_device_scalarIT5_EEPKT1_PKT2_PKT3_PT4_21rocsparse_index_base_b,comdat
	.globl	_ZN9rocsparseL23coomvn_aos_atomic_loopsILj256ELj1ElaaffEEvlNS_24const_host_device_scalarIT5_EEPKT1_PKT2_PKT3_PT4_21rocsparse_index_base_b ; -- Begin function _ZN9rocsparseL23coomvn_aos_atomic_loopsILj256ELj1ElaaffEEvlNS_24const_host_device_scalarIT5_EEPKT1_PKT2_PKT3_PT4_21rocsparse_index_base_b
	.p2align	8
	.type	_ZN9rocsparseL23coomvn_aos_atomic_loopsILj256ELj1ElaaffEEvlNS_24const_host_device_scalarIT5_EEPKT1_PKT2_PKT3_PT4_21rocsparse_index_base_b,@function
_ZN9rocsparseL23coomvn_aos_atomic_loopsILj256ELj1ElaaffEEvlNS_24const_host_device_scalarIT5_EEPKT1_PKT2_PKT3_PT4_21rocsparse_index_base_b: ; @_ZN9rocsparseL23coomvn_aos_atomic_loopsILj256ELj1ElaaffEEvlNS_24const_host_device_scalarIT5_EEPKT1_PKT2_PKT3_PT4_21rocsparse_index_base_b
; %bb.0:
	s_load_dwordx2 s[8:9], s[4:5], 0x30
	s_load_dwordx4 s[0:3], s[4:5], 0x0
	s_waitcnt lgkmcnt(0)
	s_bitcmp1_b32 s9, 0
	s_cselect_b64 s[10:11], -1, 0
	s_and_b64 vcc, exec, s[10:11]
	s_cbranch_vccnz .LBB43_2
; %bb.1:
	s_load_dword s2, s[2:3], 0x0
.LBB43_2:
	s_waitcnt lgkmcnt(0)
	v_cmp_eq_f32_e64 s[10:11], s2, 0
	s_and_b64 vcc, exec, s[10:11]
	s_cbranch_vccnz .LBB43_44
; %bb.3:
	v_lshl_or_b32 v1, s6, 8, v0
	v_mov_b32_e32 v2, 0
	v_cmp_gt_i64_e32 vcc, s[0:1], v[1:2]
	v_mov_b32_e32 v3, -1
	v_mov_b32_e32 v4, -1
	s_and_saveexec_b64 s[0:1], vcc
	s_cbranch_execz .LBB43_5
; %bb.4:
	s_load_dwordx4 s[12:15], s[4:5], 0x10
	s_load_dwordx2 s[6:7], s[4:5], 0x20
	v_lshlrev_b64 v[2:3], 4, v[1:2]
	s_waitcnt lgkmcnt(0)
	v_mov_b32_e32 v4, s13
	v_add_co_u32_e32 v2, vcc, s12, v2
	v_addc_co_u32_e32 v3, vcc, v4, v3, vcc
	global_load_dwordx4 v[3:6], v[2:3], off glc slc
	v_mov_b32_e32 v2, s15
	v_add_co_u32_e32 v1, vcc, s14, v1
	v_addc_co_u32_e32 v2, vcc, 0, v2, vcc
	global_load_sbyte v8, v[1:2], off glc slc
	v_mov_b32_e32 v7, s7
	s_waitcnt vmcnt(1)
	v_subrev_co_u32_e32 v1, vcc, s8, v5
	v_subbrev_co_u32_e32 v2, vcc, 0, v6, vcc
	v_add_co_u32_e32 v1, vcc, s6, v1
	v_addc_co_u32_e32 v2, vcc, v7, v2, vcc
	global_load_sbyte v1, v[1:2], off
	s_waitcnt vmcnt(1)
	v_cvt_f32_i32_e32 v2, v8
	v_subrev_co_u32_e32 v3, vcc, s8, v3
	v_subbrev_co_u32_e32 v4, vcc, 0, v4, vcc
	s_waitcnt vmcnt(0)
	v_cvt_f32_i32_e32 v1, v1
	v_mul_f32_e32 v2, v2, v1
.LBB43_5:
	s_or_b64 exec, exec, s[0:1]
	v_lshlrev_b32_e32 v6, 2, v0
	v_lshlrev_b32_e32 v1, 3, v0
	v_or_b32_e32 v5, 0x800, v6
	v_cmp_ne_u32_e32 vcc, 0, v0
	ds_write_b64 v1, v[3:4]
	ds_write_b32 v6, v2 offset:2048
	s_waitcnt lgkmcnt(0)
	s_barrier
	s_and_saveexec_b64 s[0:1], vcc
	s_cbranch_execz .LBB43_9
; %bb.6:
	v_add_u32_e32 v6, -8, v1
	ds_read_b64 v[6:7], v6
	s_waitcnt lgkmcnt(0)
	v_cmp_eq_u64_e32 vcc, v[3:4], v[6:7]
	s_and_saveexec_b64 s[6:7], vcc
	s_cbranch_execz .LBB43_8
; %bb.7:
	v_add_u32_e32 v6, -4, v5
	ds_read_b32 v6, v6
	s_waitcnt lgkmcnt(0)
	v_add_f32_e32 v2, v2, v6
.LBB43_8:
	s_or_b64 exec, exec, s[6:7]
.LBB43_9:
	s_or_b64 exec, exec, s[0:1]
	v_cmp_lt_u32_e32 vcc, 1, v0
	s_barrier
	ds_write_b32 v5, v2
	s_waitcnt lgkmcnt(0)
	s_barrier
	s_and_saveexec_b64 s[0:1], vcc
	s_cbranch_execz .LBB43_13
; %bb.10:
	v_add_u32_e32 v6, -16, v1
	ds_read_b64 v[6:7], v6
	s_waitcnt lgkmcnt(0)
	v_cmp_eq_u64_e32 vcc, v[3:4], v[6:7]
	s_and_saveexec_b64 s[6:7], vcc
	s_cbranch_execz .LBB43_12
; %bb.11:
	v_add_u32_e32 v6, -8, v5
	ds_read_b32 v6, v6
	s_waitcnt lgkmcnt(0)
	v_add_f32_e32 v2, v2, v6
.LBB43_12:
	s_or_b64 exec, exec, s[6:7]
.LBB43_13:
	s_or_b64 exec, exec, s[0:1]
	v_cmp_lt_u32_e32 vcc, 3, v0
	s_barrier
	ds_write_b32 v5, v2
	s_waitcnt lgkmcnt(0)
	s_barrier
	s_and_saveexec_b64 s[0:1], vcc
	s_cbranch_execz .LBB43_17
; %bb.14:
	v_subrev_u32_e32 v6, 32, v1
	ds_read_b64 v[6:7], v6
	s_waitcnt lgkmcnt(0)
	v_cmp_eq_u64_e32 vcc, v[3:4], v[6:7]
	s_and_saveexec_b64 s[6:7], vcc
	s_cbranch_execz .LBB43_16
; %bb.15:
	v_add_u32_e32 v6, -16, v5
	ds_read_b32 v6, v6
	s_waitcnt lgkmcnt(0)
	v_add_f32_e32 v2, v2, v6
.LBB43_16:
	s_or_b64 exec, exec, s[6:7]
.LBB43_17:
	s_or_b64 exec, exec, s[0:1]
	v_cmp_lt_u32_e32 vcc, 7, v0
	s_barrier
	ds_write_b32 v5, v2
	s_waitcnt lgkmcnt(0)
	s_barrier
	s_and_saveexec_b64 s[0:1], vcc
	s_cbranch_execz .LBB43_21
; %bb.18:
	v_subrev_u32_e32 v6, 64, v1
	ds_read_b64 v[6:7], v6
	s_waitcnt lgkmcnt(0)
	v_cmp_eq_u64_e32 vcc, v[3:4], v[6:7]
	s_and_saveexec_b64 s[6:7], vcc
	s_cbranch_execz .LBB43_20
; %bb.19:
	v_subrev_u32_e32 v6, 32, v5
	ds_read_b32 v6, v6
	s_waitcnt lgkmcnt(0)
	v_add_f32_e32 v2, v2, v6
.LBB43_20:
	s_or_b64 exec, exec, s[6:7]
.LBB43_21:
	s_or_b64 exec, exec, s[0:1]
	v_cmp_lt_u32_e32 vcc, 15, v0
	s_barrier
	ds_write_b32 v5, v2
	s_waitcnt lgkmcnt(0)
	s_barrier
	s_and_saveexec_b64 s[0:1], vcc
	s_cbranch_execz .LBB43_25
; %bb.22:
	v_add_u32_e32 v6, 0xffffff80, v1
	ds_read_b64 v[6:7], v6
	s_waitcnt lgkmcnt(0)
	v_cmp_eq_u64_e32 vcc, v[3:4], v[6:7]
	s_and_saveexec_b64 s[6:7], vcc
	s_cbranch_execz .LBB43_24
; %bb.23:
	v_subrev_u32_e32 v6, 64, v5
	ds_read_b32 v6, v6
	s_waitcnt lgkmcnt(0)
	v_add_f32_e32 v2, v2, v6
.LBB43_24:
	s_or_b64 exec, exec, s[6:7]
.LBB43_25:
	s_or_b64 exec, exec, s[0:1]
	v_cmp_lt_u32_e32 vcc, 31, v0
	s_barrier
	ds_write_b32 v5, v2
	s_waitcnt lgkmcnt(0)
	s_barrier
	s_and_saveexec_b64 s[0:1], vcc
	s_cbranch_execz .LBB43_29
; %bb.26:
	v_add_u32_e32 v6, 0xffffff00, v1
	ds_read_b64 v[6:7], v6
	s_waitcnt lgkmcnt(0)
	v_cmp_eq_u64_e32 vcc, v[3:4], v[6:7]
	s_and_saveexec_b64 s[6:7], vcc
	s_cbranch_execz .LBB43_28
; %bb.27:
	v_add_u32_e32 v6, 0xffffff80, v5
	ds_read_b32 v6, v6
	s_waitcnt lgkmcnt(0)
	v_add_f32_e32 v2, v2, v6
.LBB43_28:
	s_or_b64 exec, exec, s[6:7]
.LBB43_29:
	s_or_b64 exec, exec, s[0:1]
	v_cmp_lt_u32_e32 vcc, 63, v0
	s_barrier
	ds_write_b32 v5, v2
	s_waitcnt lgkmcnt(0)
	s_barrier
	s_and_saveexec_b64 s[0:1], vcc
	s_cbranch_execz .LBB43_33
; %bb.30:
	v_add_u32_e32 v6, 0xfffffe00, v1
	ds_read_b64 v[6:7], v6
	s_waitcnt lgkmcnt(0)
	v_cmp_eq_u64_e32 vcc, v[3:4], v[6:7]
	s_and_saveexec_b64 s[6:7], vcc
	s_cbranch_execz .LBB43_32
; %bb.31:
	v_add_u32_e32 v6, 0xffffff00, v5
	ds_read_b32 v6, v6
	s_waitcnt lgkmcnt(0)
	v_add_f32_e32 v2, v2, v6
.LBB43_32:
	s_or_b64 exec, exec, s[6:7]
.LBB43_33:
	s_or_b64 exec, exec, s[0:1]
	s_load_dwordx2 s[4:5], s[4:5], 0x28
	s_movk_i32 s0, 0x7f
	v_cmp_lt_u32_e32 vcc, s0, v0
	s_waitcnt lgkmcnt(0)
	s_barrier
	ds_write_b32 v5, v2
	s_waitcnt lgkmcnt(0)
	s_barrier
	s_and_saveexec_b64 s[0:1], vcc
	s_cbranch_execz .LBB43_37
; %bb.34:
	v_add_u32_e32 v6, 0xfffffc00, v1
	ds_read_b64 v[6:7], v6
	s_waitcnt lgkmcnt(0)
	v_cmp_eq_u64_e32 vcc, v[3:4], v[6:7]
	s_and_saveexec_b64 s[6:7], vcc
	s_cbranch_execz .LBB43_36
; %bb.35:
	v_add_u32_e32 v6, 0xfffffe00, v5
	ds_read_b32 v6, v6
	s_waitcnt lgkmcnt(0)
	v_add_f32_e32 v2, v2, v6
.LBB43_36:
	s_or_b64 exec, exec, s[6:7]
.LBB43_37:
	s_or_b64 exec, exec, s[0:1]
	s_movk_i32 s3, 0xff
	v_cmp_gt_u32_e32 vcc, s3, v0
	s_barrier
	ds_write_b32 v5, v2
	s_waitcnt lgkmcnt(0)
	s_barrier
	s_and_saveexec_b64 s[6:7], vcc
	s_cbranch_execz .LBB43_41
; %bb.38:
	ds_read_b64 v[5:6], v1 offset:8
	v_cmp_lt_i64_e64 s[0:1], -1, v[3:4]
	s_waitcnt lgkmcnt(0)
	v_cmp_ne_u64_e32 vcc, v[3:4], v[5:6]
	s_and_b64 s[0:1], s[0:1], vcc
	s_and_b64 exec, exec, s[0:1]
	s_cbranch_execz .LBB43_41
; %bb.39:
	v_lshlrev_b64 v[5:6], 2, v[3:4]
	v_mov_b32_e32 v1, s5
	v_add_co_u32_e32 v5, vcc, s4, v5
	v_addc_co_u32_e32 v6, vcc, v1, v6, vcc
	global_load_dword v8, v[5:6], off
	v_mul_f32_e32 v1, s2, v2
	s_mov_b64 s[0:1], 0
.LBB43_40:                              ; =>This Inner Loop Header: Depth=1
	s_waitcnt vmcnt(0)
	v_add_f32_e32 v7, v8, v1
	global_atomic_cmpswap v7, v[5:6], v[7:8], off glc
	s_waitcnt vmcnt(0)
	v_cmp_eq_u32_e32 vcc, v7, v8
	s_or_b64 s[0:1], vcc, s[0:1]
	v_mov_b32_e32 v8, v7
	s_andn2_b64 exec, exec, s[0:1]
	s_cbranch_execnz .LBB43_40
.LBB43_41:
	s_or_b64 exec, exec, s[6:7]
	v_cmp_lt_i64_e32 vcc, -1, v[3:4]
	v_cmp_eq_u32_e64 s[0:1], s3, v0
	s_and_b64 s[0:1], s[0:1], vcc
	s_and_saveexec_b64 s[6:7], s[0:1]
	s_cbranch_execz .LBB43_44
; %bb.42:
	v_lshlrev_b64 v[0:1], 2, v[3:4]
	v_mov_b32_e32 v3, s5
	v_add_co_u32_e32 v0, vcc, s4, v0
	v_addc_co_u32_e32 v1, vcc, v3, v1, vcc
	global_load_dword v3, v[0:1], off
	v_mul_f32_e32 v4, s2, v2
	s_mov_b64 s[0:1], 0
.LBB43_43:                              ; =>This Inner Loop Header: Depth=1
	s_waitcnt vmcnt(0)
	v_add_f32_e32 v2, v3, v4
	global_atomic_cmpswap v2, v[0:1], v[2:3], off glc
	s_waitcnt vmcnt(0)
	v_cmp_eq_u32_e32 vcc, v2, v3
	s_or_b64 s[0:1], vcc, s[0:1]
	v_mov_b32_e32 v3, v2
	s_andn2_b64 exec, exec, s[0:1]
	s_cbranch_execnz .LBB43_43
.LBB43_44:
	s_endpgm
	.section	.rodata,"a",@progbits
	.p2align	6, 0x0
	.amdhsa_kernel _ZN9rocsparseL23coomvn_aos_atomic_loopsILj256ELj1ElaaffEEvlNS_24const_host_device_scalarIT5_EEPKT1_PKT2_PKT3_PT4_21rocsparse_index_base_b
		.amdhsa_group_segment_fixed_size 3072
		.amdhsa_private_segment_fixed_size 0
		.amdhsa_kernarg_size 56
		.amdhsa_user_sgpr_count 6
		.amdhsa_user_sgpr_private_segment_buffer 1
		.amdhsa_user_sgpr_dispatch_ptr 0
		.amdhsa_user_sgpr_queue_ptr 0
		.amdhsa_user_sgpr_kernarg_segment_ptr 1
		.amdhsa_user_sgpr_dispatch_id 0
		.amdhsa_user_sgpr_flat_scratch_init 0
		.amdhsa_user_sgpr_private_segment_size 0
		.amdhsa_uses_dynamic_stack 0
		.amdhsa_system_sgpr_private_segment_wavefront_offset 0
		.amdhsa_system_sgpr_workgroup_id_x 1
		.amdhsa_system_sgpr_workgroup_id_y 0
		.amdhsa_system_sgpr_workgroup_id_z 0
		.amdhsa_system_sgpr_workgroup_info 0
		.amdhsa_system_vgpr_workitem_id 0
		.amdhsa_next_free_vgpr 9
		.amdhsa_next_free_sgpr 16
		.amdhsa_reserve_vcc 1
		.amdhsa_reserve_flat_scratch 0
		.amdhsa_float_round_mode_32 0
		.amdhsa_float_round_mode_16_64 0
		.amdhsa_float_denorm_mode_32 3
		.amdhsa_float_denorm_mode_16_64 3
		.amdhsa_dx10_clamp 1
		.amdhsa_ieee_mode 1
		.amdhsa_fp16_overflow 0
		.amdhsa_exception_fp_ieee_invalid_op 0
		.amdhsa_exception_fp_denorm_src 0
		.amdhsa_exception_fp_ieee_div_zero 0
		.amdhsa_exception_fp_ieee_overflow 0
		.amdhsa_exception_fp_ieee_underflow 0
		.amdhsa_exception_fp_ieee_inexact 0
		.amdhsa_exception_int_div_zero 0
	.end_amdhsa_kernel
	.section	.text._ZN9rocsparseL23coomvn_aos_atomic_loopsILj256ELj1ElaaffEEvlNS_24const_host_device_scalarIT5_EEPKT1_PKT2_PKT3_PT4_21rocsparse_index_base_b,"axG",@progbits,_ZN9rocsparseL23coomvn_aos_atomic_loopsILj256ELj1ElaaffEEvlNS_24const_host_device_scalarIT5_EEPKT1_PKT2_PKT3_PT4_21rocsparse_index_base_b,comdat
.Lfunc_end43:
	.size	_ZN9rocsparseL23coomvn_aos_atomic_loopsILj256ELj1ElaaffEEvlNS_24const_host_device_scalarIT5_EEPKT1_PKT2_PKT3_PT4_21rocsparse_index_base_b, .Lfunc_end43-_ZN9rocsparseL23coomvn_aos_atomic_loopsILj256ELj1ElaaffEEvlNS_24const_host_device_scalarIT5_EEPKT1_PKT2_PKT3_PT4_21rocsparse_index_base_b
                                        ; -- End function
	.set _ZN9rocsparseL23coomvn_aos_atomic_loopsILj256ELj1ElaaffEEvlNS_24const_host_device_scalarIT5_EEPKT1_PKT2_PKT3_PT4_21rocsparse_index_base_b.num_vgpr, 9
	.set _ZN9rocsparseL23coomvn_aos_atomic_loopsILj256ELj1ElaaffEEvlNS_24const_host_device_scalarIT5_EEPKT1_PKT2_PKT3_PT4_21rocsparse_index_base_b.num_agpr, 0
	.set _ZN9rocsparseL23coomvn_aos_atomic_loopsILj256ELj1ElaaffEEvlNS_24const_host_device_scalarIT5_EEPKT1_PKT2_PKT3_PT4_21rocsparse_index_base_b.numbered_sgpr, 16
	.set _ZN9rocsparseL23coomvn_aos_atomic_loopsILj256ELj1ElaaffEEvlNS_24const_host_device_scalarIT5_EEPKT1_PKT2_PKT3_PT4_21rocsparse_index_base_b.num_named_barrier, 0
	.set _ZN9rocsparseL23coomvn_aos_atomic_loopsILj256ELj1ElaaffEEvlNS_24const_host_device_scalarIT5_EEPKT1_PKT2_PKT3_PT4_21rocsparse_index_base_b.private_seg_size, 0
	.set _ZN9rocsparseL23coomvn_aos_atomic_loopsILj256ELj1ElaaffEEvlNS_24const_host_device_scalarIT5_EEPKT1_PKT2_PKT3_PT4_21rocsparse_index_base_b.uses_vcc, 1
	.set _ZN9rocsparseL23coomvn_aos_atomic_loopsILj256ELj1ElaaffEEvlNS_24const_host_device_scalarIT5_EEPKT1_PKT2_PKT3_PT4_21rocsparse_index_base_b.uses_flat_scratch, 0
	.set _ZN9rocsparseL23coomvn_aos_atomic_loopsILj256ELj1ElaaffEEvlNS_24const_host_device_scalarIT5_EEPKT1_PKT2_PKT3_PT4_21rocsparse_index_base_b.has_dyn_sized_stack, 0
	.set _ZN9rocsparseL23coomvn_aos_atomic_loopsILj256ELj1ElaaffEEvlNS_24const_host_device_scalarIT5_EEPKT1_PKT2_PKT3_PT4_21rocsparse_index_base_b.has_recursion, 0
	.set _ZN9rocsparseL23coomvn_aos_atomic_loopsILj256ELj1ElaaffEEvlNS_24const_host_device_scalarIT5_EEPKT1_PKT2_PKT3_PT4_21rocsparse_index_base_b.has_indirect_call, 0
	.section	.AMDGPU.csdata,"",@progbits
; Kernel info:
; codeLenInByte = 1252
; TotalNumSgprs: 20
; NumVgprs: 9
; ScratchSize: 0
; MemoryBound: 0
; FloatMode: 240
; IeeeMode: 1
; LDSByteSize: 3072 bytes/workgroup (compile time only)
; SGPRBlocks: 2
; VGPRBlocks: 2
; NumSGPRsForWavesPerEU: 20
; NumVGPRsForWavesPerEU: 9
; Occupancy: 10
; WaveLimiterHint : 1
; COMPUTE_PGM_RSRC2:SCRATCH_EN: 0
; COMPUTE_PGM_RSRC2:USER_SGPR: 6
; COMPUTE_PGM_RSRC2:TRAP_HANDLER: 0
; COMPUTE_PGM_RSRC2:TGID_X_EN: 1
; COMPUTE_PGM_RSRC2:TGID_Y_EN: 0
; COMPUTE_PGM_RSRC2:TGID_Z_EN: 0
; COMPUTE_PGM_RSRC2:TIDIG_COMP_CNT: 0
	.section	.text._ZN9rocsparseL17coomvt_aos_kernelILj1024ElaaffEEv20rocsparse_operation_lNS_24const_host_device_scalarIT4_EEPKT0_PKT1_PKT2_PT3_21rocsparse_index_base_b,"axG",@progbits,_ZN9rocsparseL17coomvt_aos_kernelILj1024ElaaffEEv20rocsparse_operation_lNS_24const_host_device_scalarIT4_EEPKT0_PKT1_PKT2_PT3_21rocsparse_index_base_b,comdat
	.globl	_ZN9rocsparseL17coomvt_aos_kernelILj1024ElaaffEEv20rocsparse_operation_lNS_24const_host_device_scalarIT4_EEPKT0_PKT1_PKT2_PT3_21rocsparse_index_base_b ; -- Begin function _ZN9rocsparseL17coomvt_aos_kernelILj1024ElaaffEEv20rocsparse_operation_lNS_24const_host_device_scalarIT4_EEPKT0_PKT1_PKT2_PT3_21rocsparse_index_base_b
	.p2align	8
	.type	_ZN9rocsparseL17coomvt_aos_kernelILj1024ElaaffEEv20rocsparse_operation_lNS_24const_host_device_scalarIT4_EEPKT0_PKT1_PKT2_PT3_21rocsparse_index_base_b,@function
_ZN9rocsparseL17coomvt_aos_kernelILj1024ElaaffEEv20rocsparse_operation_lNS_24const_host_device_scalarIT4_EEPKT0_PKT1_PKT2_PT3_21rocsparse_index_base_b: ; @_ZN9rocsparseL17coomvt_aos_kernelILj1024ElaaffEEv20rocsparse_operation_lNS_24const_host_device_scalarIT4_EEPKT0_PKT1_PKT2_PT3_21rocsparse_index_base_b
; %bb.0:
	s_load_dwordx2 s[16:17], s[4:5], 0x38
	s_load_dwordx4 s[0:3], s[4:5], 0x8
	s_waitcnt lgkmcnt(0)
	s_bitcmp1_b32 s17, 0
	s_cselect_b64 s[8:9], -1, 0
	s_and_b64 vcc, exec, s[8:9]
	s_cbranch_vccnz .LBB44_2
; %bb.1:
	s_load_dword s2, s[2:3], 0x0
.LBB44_2:
	s_waitcnt lgkmcnt(0)
	v_cmp_eq_f32_e64 s[8:9], s2, 0
	s_and_b64 vcc, exec, s[8:9]
	s_cbranch_vccnz .LBB44_6
; %bb.3:
	s_load_dword s3, s[4:5], 0x4c
	v_mov_b32_e32 v1, 0
	s_waitcnt lgkmcnt(0)
	s_and_b32 s3, s3, 0xffff
	s_mul_i32 s6, s6, s3
	v_add_u32_e32 v0, s6, v0
	v_cmp_gt_i64_e32 vcc, s[0:1], v[0:1]
	s_and_saveexec_b64 s[0:1], vcc
	s_cbranch_execz .LBB44_6
; %bb.4:
	s_load_dwordx8 s[8:15], s[4:5], 0x18
	v_lshlrev_b64 v[1:2], 4, v[0:1]
	s_mov_b64 s[0:1], 0
	s_waitcnt lgkmcnt(0)
	v_mov_b32_e32 v3, s9
	v_add_co_u32_e32 v1, vcc, s8, v1
	v_addc_co_u32_e32 v2, vcc, v3, v2, vcc
	global_load_dwordx4 v[1:4], v[1:2], off
	v_mov_b32_e32 v6, s11
	v_add_co_u32_e32 v5, vcc, s10, v0
	v_addc_co_u32_e32 v6, vcc, 0, v6, vcc
	global_load_sbyte v5, v[5:6], off
	v_mov_b32_e32 v8, s13
	v_mov_b32_e32 v7, s15
	s_waitcnt vmcnt(1)
	v_subrev_co_u32_e32 v6, vcc, s16, v1
	v_subbrev_co_u32_e32 v9, vcc, 0, v2, vcc
	v_subrev_co_u32_e32 v0, vcc, s16, v3
	v_subbrev_co_u32_e32 v1, vcc, 0, v4, vcc
	v_add_co_u32_e32 v2, vcc, s12, v6
	v_addc_co_u32_e32 v3, vcc, v8, v9, vcc
	global_load_sbyte v2, v[2:3], off
	v_lshlrev_b64 v[0:1], 2, v[0:1]
	s_waitcnt vmcnt(1)
	v_cvt_f32_i32_e32 v4, v5
	v_add_co_u32_e32 v0, vcc, s14, v0
	v_addc_co_u32_e32 v1, vcc, v7, v1, vcc
	global_load_dword v3, v[0:1], off
	v_mul_f32_e32 v4, s2, v4
	s_waitcnt vmcnt(1)
	v_cvt_f32_i32_e32 v2, v2
	v_mul_f32_e32 v4, v4, v2
.LBB44_5:                               ; =>This Inner Loop Header: Depth=1
	s_waitcnt vmcnt(0)
	v_add_f32_e32 v2, v3, v4
	global_atomic_cmpswap v2, v[0:1], v[2:3], off glc
	s_waitcnt vmcnt(0)
	v_cmp_eq_u32_e32 vcc, v2, v3
	s_or_b64 s[0:1], vcc, s[0:1]
	v_mov_b32_e32 v3, v2
	s_andn2_b64 exec, exec, s[0:1]
	s_cbranch_execnz .LBB44_5
.LBB44_6:
	s_endpgm
	.section	.rodata,"a",@progbits
	.p2align	6, 0x0
	.amdhsa_kernel _ZN9rocsparseL17coomvt_aos_kernelILj1024ElaaffEEv20rocsparse_operation_lNS_24const_host_device_scalarIT4_EEPKT0_PKT1_PKT2_PT3_21rocsparse_index_base_b
		.amdhsa_group_segment_fixed_size 0
		.amdhsa_private_segment_fixed_size 0
		.amdhsa_kernarg_size 320
		.amdhsa_user_sgpr_count 6
		.amdhsa_user_sgpr_private_segment_buffer 1
		.amdhsa_user_sgpr_dispatch_ptr 0
		.amdhsa_user_sgpr_queue_ptr 0
		.amdhsa_user_sgpr_kernarg_segment_ptr 1
		.amdhsa_user_sgpr_dispatch_id 0
		.amdhsa_user_sgpr_flat_scratch_init 0
		.amdhsa_user_sgpr_private_segment_size 0
		.amdhsa_uses_dynamic_stack 0
		.amdhsa_system_sgpr_private_segment_wavefront_offset 0
		.amdhsa_system_sgpr_workgroup_id_x 1
		.amdhsa_system_sgpr_workgroup_id_y 0
		.amdhsa_system_sgpr_workgroup_id_z 0
		.amdhsa_system_sgpr_workgroup_info 0
		.amdhsa_system_vgpr_workitem_id 0
		.amdhsa_next_free_vgpr 10
		.amdhsa_next_free_sgpr 18
		.amdhsa_reserve_vcc 1
		.amdhsa_reserve_flat_scratch 0
		.amdhsa_float_round_mode_32 0
		.amdhsa_float_round_mode_16_64 0
		.amdhsa_float_denorm_mode_32 3
		.amdhsa_float_denorm_mode_16_64 3
		.amdhsa_dx10_clamp 1
		.amdhsa_ieee_mode 1
		.amdhsa_fp16_overflow 0
		.amdhsa_exception_fp_ieee_invalid_op 0
		.amdhsa_exception_fp_denorm_src 0
		.amdhsa_exception_fp_ieee_div_zero 0
		.amdhsa_exception_fp_ieee_overflow 0
		.amdhsa_exception_fp_ieee_underflow 0
		.amdhsa_exception_fp_ieee_inexact 0
		.amdhsa_exception_int_div_zero 0
	.end_amdhsa_kernel
	.section	.text._ZN9rocsparseL17coomvt_aos_kernelILj1024ElaaffEEv20rocsparse_operation_lNS_24const_host_device_scalarIT4_EEPKT0_PKT1_PKT2_PT3_21rocsparse_index_base_b,"axG",@progbits,_ZN9rocsparseL17coomvt_aos_kernelILj1024ElaaffEEv20rocsparse_operation_lNS_24const_host_device_scalarIT4_EEPKT0_PKT1_PKT2_PT3_21rocsparse_index_base_b,comdat
.Lfunc_end44:
	.size	_ZN9rocsparseL17coomvt_aos_kernelILj1024ElaaffEEv20rocsparse_operation_lNS_24const_host_device_scalarIT4_EEPKT0_PKT1_PKT2_PT3_21rocsparse_index_base_b, .Lfunc_end44-_ZN9rocsparseL17coomvt_aos_kernelILj1024ElaaffEEv20rocsparse_operation_lNS_24const_host_device_scalarIT4_EEPKT0_PKT1_PKT2_PT3_21rocsparse_index_base_b
                                        ; -- End function
	.set _ZN9rocsparseL17coomvt_aos_kernelILj1024ElaaffEEv20rocsparse_operation_lNS_24const_host_device_scalarIT4_EEPKT0_PKT1_PKT2_PT3_21rocsparse_index_base_b.num_vgpr, 10
	.set _ZN9rocsparseL17coomvt_aos_kernelILj1024ElaaffEEv20rocsparse_operation_lNS_24const_host_device_scalarIT4_EEPKT0_PKT1_PKT2_PT3_21rocsparse_index_base_b.num_agpr, 0
	.set _ZN9rocsparseL17coomvt_aos_kernelILj1024ElaaffEEv20rocsparse_operation_lNS_24const_host_device_scalarIT4_EEPKT0_PKT1_PKT2_PT3_21rocsparse_index_base_b.numbered_sgpr, 18
	.set _ZN9rocsparseL17coomvt_aos_kernelILj1024ElaaffEEv20rocsparse_operation_lNS_24const_host_device_scalarIT4_EEPKT0_PKT1_PKT2_PT3_21rocsparse_index_base_b.num_named_barrier, 0
	.set _ZN9rocsparseL17coomvt_aos_kernelILj1024ElaaffEEv20rocsparse_operation_lNS_24const_host_device_scalarIT4_EEPKT0_PKT1_PKT2_PT3_21rocsparse_index_base_b.private_seg_size, 0
	.set _ZN9rocsparseL17coomvt_aos_kernelILj1024ElaaffEEv20rocsparse_operation_lNS_24const_host_device_scalarIT4_EEPKT0_PKT1_PKT2_PT3_21rocsparse_index_base_b.uses_vcc, 1
	.set _ZN9rocsparseL17coomvt_aos_kernelILj1024ElaaffEEv20rocsparse_operation_lNS_24const_host_device_scalarIT4_EEPKT0_PKT1_PKT2_PT3_21rocsparse_index_base_b.uses_flat_scratch, 0
	.set _ZN9rocsparseL17coomvt_aos_kernelILj1024ElaaffEEv20rocsparse_operation_lNS_24const_host_device_scalarIT4_EEPKT0_PKT1_PKT2_PT3_21rocsparse_index_base_b.has_dyn_sized_stack, 0
	.set _ZN9rocsparseL17coomvt_aos_kernelILj1024ElaaffEEv20rocsparse_operation_lNS_24const_host_device_scalarIT4_EEPKT0_PKT1_PKT2_PT3_21rocsparse_index_base_b.has_recursion, 0
	.set _ZN9rocsparseL17coomvt_aos_kernelILj1024ElaaffEEv20rocsparse_operation_lNS_24const_host_device_scalarIT4_EEPKT0_PKT1_PKT2_PT3_21rocsparse_index_base_b.has_indirect_call, 0
	.section	.AMDGPU.csdata,"",@progbits
; Kernel info:
; codeLenInByte = 308
; TotalNumSgprs: 22
; NumVgprs: 10
; ScratchSize: 0
; MemoryBound: 0
; FloatMode: 240
; IeeeMode: 1
; LDSByteSize: 0 bytes/workgroup (compile time only)
; SGPRBlocks: 2
; VGPRBlocks: 2
; NumSGPRsForWavesPerEU: 22
; NumVGPRsForWavesPerEU: 10
; Occupancy: 10
; WaveLimiterHint : 1
; COMPUTE_PGM_RSRC2:SCRATCH_EN: 0
; COMPUTE_PGM_RSRC2:USER_SGPR: 6
; COMPUTE_PGM_RSRC2:TRAP_HANDLER: 0
; COMPUTE_PGM_RSRC2:TGID_X_EN: 1
; COMPUTE_PGM_RSRC2:TGID_Y_EN: 0
; COMPUTE_PGM_RSRC2:TGID_Z_EN: 0
; COMPUTE_PGM_RSRC2:TIDIG_COMP_CNT: 0
	.section	.text._ZN9rocsparseL26coomvn_aos_segmented_loopsILj256ElaaffEEvlT0_NS_24const_host_device_scalarIT4_EEPKS1_PKT1_PKT2_PT3_PS1_PS3_21rocsparse_index_base_b,"axG",@progbits,_ZN9rocsparseL26coomvn_aos_segmented_loopsILj256ElaaffEEvlT0_NS_24const_host_device_scalarIT4_EEPKS1_PKT1_PKT2_PT3_PS1_PS3_21rocsparse_index_base_b,comdat
	.globl	_ZN9rocsparseL26coomvn_aos_segmented_loopsILj256ElaaffEEvlT0_NS_24const_host_device_scalarIT4_EEPKS1_PKT1_PKT2_PT3_PS1_PS3_21rocsparse_index_base_b ; -- Begin function _ZN9rocsparseL26coomvn_aos_segmented_loopsILj256ElaaffEEvlT0_NS_24const_host_device_scalarIT4_EEPKS1_PKT1_PKT2_PT3_PS1_PS3_21rocsparse_index_base_b
	.p2align	8
	.type	_ZN9rocsparseL26coomvn_aos_segmented_loopsILj256ElaaffEEvlT0_NS_24const_host_device_scalarIT4_EEPKS1_PKT1_PKT2_PT3_PS1_PS3_21rocsparse_index_base_b,@function
_ZN9rocsparseL26coomvn_aos_segmented_loopsILj256ElaaffEEvlT0_NS_24const_host_device_scalarIT4_EEPKS1_PKT1_PKT2_PT3_PS1_PS3_21rocsparse_index_base_b: ; @_ZN9rocsparseL26coomvn_aos_segmented_loopsILj256ElaaffEEvlT0_NS_24const_host_device_scalarIT4_EEPKS1_PKT1_PKT2_PT3_PS1_PS3_21rocsparse_index_base_b
; %bb.0:
	s_load_dwordx2 s[40:41], s[4:5], 0x48
	s_load_dwordx2 s[34:35], s[4:5], 0x10
	s_waitcnt lgkmcnt(0)
	s_bitcmp1_b32 s41, 0
	s_cselect_b64 s[0:1], -1, 0
	s_and_b64 vcc, exec, s[0:1]
	s_cbranch_vccnz .LBB45_2
; %bb.1:
	s_load_dword s34, s[34:35], 0x0
.LBB45_2:
	s_waitcnt lgkmcnt(0)
	v_cmp_eq_f32_e64 s[0:1], s34, 0
	s_mov_b32 s7, 0
	s_and_b64 vcc, exec, s[0:1]
	s_cbranch_vccnz .LBB45_89
; %bb.3:
	s_load_dwordx4 s[28:31], s[4:5], 0x0
	s_load_dwordx4 s[36:39], s[4:5], 0x18
	s_load_dwordx2 s[48:49], s[4:5], 0x28
	v_mov_b32_e32 v1, -1
	v_mov_b32_e32 v2, -1
	s_waitcnt lgkmcnt(0)
	s_mul_i32 s1, s6, s31
	s_mul_hi_u32 s2, s6, s30
	s_mul_i32 s0, s6, s30
	s_add_i32 s1, s2, s1
	s_lshl_b64 s[0:1], s[0:1], 8
	v_or_b32_e32 v3, s0, v0
	v_mov_b32_e32 v4, s1
	v_cmp_gt_i64_e32 vcc, s[28:29], v[3:4]
	v_mov_b32_e32 v13, 0
	s_and_saveexec_b64 s[0:1], vcc
	s_cbranch_execz .LBB45_5
; %bb.4:
	v_lshlrev_b64 v[1:2], 4, v[3:4]
	v_mov_b32_e32 v5, s37
	v_add_co_u32_e32 v1, vcc, s36, v1
	v_addc_co_u32_e32 v2, vcc, v5, v2, vcc
	global_load_dwordx4 v[5:8], v[1:2], off glc slc
	v_mov_b32_e32 v2, s39
	v_add_co_u32_e32 v1, vcc, s38, v3
	s_ashr_i32 s2, s40, 31
	v_addc_co_u32_e32 v2, vcc, v2, v4, vcc
	v_mov_b32_e32 v9, s49
	s_sub_u32 s3, 0, s40
	global_load_sbyte v10, v[1:2], off glc slc
	s_subb_u32 s2, 0, s2
	v_mov_b32_e32 v2, s2
	s_waitcnt vmcnt(1)
	v_add_co_u32_e32 v1, vcc, s48, v7
	v_addc_co_u32_e32 v7, vcc, v9, v8, vcc
	v_add_co_u32_e32 v1, vcc, s3, v1
	v_addc_co_u32_e32 v2, vcc, v7, v2, vcc
	global_load_sbyte v1, v[1:2], off
	s_waitcnt vmcnt(1)
	v_cvt_f32_i32_e32 v7, v10
	s_waitcnt vmcnt(0)
	v_cvt_f32_i32_e32 v8, v1
	v_subrev_co_u32_e32 v1, vcc, s40, v5
	v_subbrev_co_u32_e32 v2, vcc, 0, v6, vcc
	v_mul_f32_e32 v13, v7, v8
.LBB45_5:
	s_or_b64 exec, exec, s[0:1]
	v_lshlrev_b32_e32 v9, 3, v0
	v_lshlrev_b32_e32 v5, 2, v0
	v_or_b32_e32 v10, 0x800, v5
	v_cmp_eq_u32_e64 s[0:1], 0, v0
	v_cmp_ne_u32_e64 s[2:3], 0, v0
	v_add_u32_e32 v11, -8, v9
	ds_write_b64 v9, v[1:2]
	ds_write_b32 v5, v13 offset:2048
	s_waitcnt lgkmcnt(0)
	s_barrier
	s_and_saveexec_b64 s[8:9], s[2:3]
	s_cbranch_execz .LBB45_9
; %bb.6:
	ds_read_b64 v[5:6], v11
	s_waitcnt lgkmcnt(0)
	v_cmp_eq_u64_e32 vcc, v[1:2], v[5:6]
	s_and_saveexec_b64 s[10:11], vcc
	s_cbranch_execz .LBB45_8
; %bb.7:
	v_add_u32_e32 v5, -4, v10
	ds_read_b32 v5, v5
	s_waitcnt lgkmcnt(0)
	v_add_f32_e32 v13, v13, v5
.LBB45_8:
	s_or_b64 exec, exec, s[10:11]
.LBB45_9:
	s_or_b64 exec, exec, s[8:9]
	v_cmp_lt_u32_e64 s[22:23], 1, v0
	v_add_u32_e32 v12, -16, v9
	s_barrier
	ds_write_b32 v10, v13
	s_waitcnt lgkmcnt(0)
	s_barrier
	s_and_saveexec_b64 s[8:9], s[22:23]
	s_cbranch_execz .LBB45_13
; %bb.10:
	ds_read_b64 v[5:6], v12
	s_waitcnt lgkmcnt(0)
	v_cmp_eq_u64_e32 vcc, v[1:2], v[5:6]
	s_and_saveexec_b64 s[10:11], vcc
	s_cbranch_execz .LBB45_12
; %bb.11:
	v_add_u32_e32 v5, -8, v10
	ds_read_b32 v5, v5
	s_waitcnt lgkmcnt(0)
	v_add_f32_e32 v13, v13, v5
.LBB45_12:
	s_or_b64 exec, exec, s[10:11]
.LBB45_13:
	s_or_b64 exec, exec, s[8:9]
	v_cmp_lt_u32_e64 s[8:9], 3, v0
	v_subrev_u32_e32 v14, 32, v9
	s_barrier
	ds_write_b32 v10, v13
	s_waitcnt lgkmcnt(0)
	s_barrier
	s_and_saveexec_b64 s[10:11], s[8:9]
	s_cbranch_execz .LBB45_17
; %bb.14:
	ds_read_b64 v[5:6], v14
	s_waitcnt lgkmcnt(0)
	v_cmp_eq_u64_e32 vcc, v[1:2], v[5:6]
	s_and_saveexec_b64 s[12:13], vcc
	s_cbranch_execz .LBB45_16
; %bb.15:
	v_add_u32_e32 v5, -16, v10
	ds_read_b32 v5, v5
	s_waitcnt lgkmcnt(0)
	v_add_f32_e32 v13, v13, v5
.LBB45_16:
	s_or_b64 exec, exec, s[12:13]
.LBB45_17:
	s_or_b64 exec, exec, s[10:11]
	v_cmp_lt_u32_e64 s[10:11], 7, v0
	v_subrev_u32_e32 v15, 64, v9
	s_barrier
	ds_write_b32 v10, v13
	s_waitcnt lgkmcnt(0)
	s_barrier
	s_and_saveexec_b64 s[12:13], s[10:11]
	s_cbranch_execz .LBB45_21
; %bb.18:
	ds_read_b64 v[5:6], v15
	s_waitcnt lgkmcnt(0)
	v_cmp_eq_u64_e32 vcc, v[1:2], v[5:6]
	s_and_saveexec_b64 s[14:15], vcc
	s_cbranch_execz .LBB45_20
; %bb.19:
	v_subrev_u32_e32 v5, 32, v10
	ds_read_b32 v5, v5
	s_waitcnt lgkmcnt(0)
	v_add_f32_e32 v13, v13, v5
.LBB45_20:
	s_or_b64 exec, exec, s[14:15]
.LBB45_21:
	s_or_b64 exec, exec, s[12:13]
	v_cmp_lt_u32_e64 s[12:13], 15, v0
	s_barrier
	ds_write_b32 v10, v13
	s_waitcnt lgkmcnt(0)
	s_barrier
	s_and_saveexec_b64 s[14:15], s[12:13]
	s_cbranch_execz .LBB45_25
; %bb.22:
	v_add_u32_e32 v5, 0xffffff80, v9
	ds_read_b64 v[5:6], v5
	s_waitcnt lgkmcnt(0)
	v_cmp_eq_u64_e32 vcc, v[1:2], v[5:6]
	s_and_saveexec_b64 s[16:17], vcc
	s_cbranch_execz .LBB45_24
; %bb.23:
	v_subrev_u32_e32 v5, 64, v10
	ds_read_b32 v5, v5
	s_waitcnt lgkmcnt(0)
	v_add_f32_e32 v13, v13, v5
.LBB45_24:
	s_or_b64 exec, exec, s[16:17]
.LBB45_25:
	s_or_b64 exec, exec, s[14:15]
	v_cmp_lt_u32_e64 s[14:15], 31, v0
	s_barrier
	ds_write_b32 v10, v13
	s_waitcnt lgkmcnt(0)
	s_barrier
	s_and_saveexec_b64 s[16:17], s[14:15]
	s_cbranch_execz .LBB45_29
; %bb.26:
	v_add_u32_e32 v5, 0xffffff00, v9
	ds_read_b64 v[5:6], v5
	s_waitcnt lgkmcnt(0)
	v_cmp_eq_u64_e32 vcc, v[1:2], v[5:6]
	s_and_saveexec_b64 s[18:19], vcc
	s_cbranch_execz .LBB45_28
; %bb.27:
	v_add_u32_e32 v5, 0xffffff80, v10
	ds_read_b32 v5, v5
	s_waitcnt lgkmcnt(0)
	v_add_f32_e32 v13, v13, v5
.LBB45_28:
	s_or_b64 exec, exec, s[18:19]
.LBB45_29:
	s_or_b64 exec, exec, s[16:17]
	v_cmp_lt_u32_e64 s[16:17], 63, v0
	s_barrier
	ds_write_b32 v10, v13
	s_waitcnt lgkmcnt(0)
	s_barrier
	s_and_saveexec_b64 s[18:19], s[16:17]
	s_cbranch_execz .LBB45_33
; %bb.30:
	v_add_u32_e32 v5, 0xfffffe00, v9
	ds_read_b64 v[5:6], v5
	s_waitcnt lgkmcnt(0)
	v_cmp_eq_u64_e32 vcc, v[1:2], v[5:6]
	s_and_saveexec_b64 s[20:21], vcc
	s_cbranch_execz .LBB45_32
; %bb.31:
	v_add_u32_e32 v5, 0xffffff00, v10
	ds_read_b32 v5, v5
	s_waitcnt lgkmcnt(0)
	v_add_f32_e32 v13, v13, v5
.LBB45_32:
	s_or_b64 exec, exec, s[20:21]
.LBB45_33:
	s_or_b64 exec, exec, s[18:19]
	s_load_dwordx2 s[42:43], s[4:5], 0x30
	s_movk_i32 s18, 0x7f
	v_cmp_lt_u32_e64 s[18:19], s18, v0
	s_waitcnt lgkmcnt(0)
	s_barrier
	ds_write_b32 v10, v13
	s_waitcnt lgkmcnt(0)
	s_barrier
	s_and_saveexec_b64 s[20:21], s[18:19]
	s_cbranch_execz .LBB45_37
; %bb.34:
	v_add_u32_e32 v5, 0xfffffc00, v9
	ds_read_b64 v[5:6], v5
	s_waitcnt lgkmcnt(0)
	v_cmp_eq_u64_e32 vcc, v[1:2], v[5:6]
	s_and_saveexec_b64 s[24:25], vcc
	s_cbranch_execz .LBB45_36
; %bb.35:
	v_add_u32_e32 v5, 0xfffffe00, v10
	ds_read_b32 v5, v5
	s_waitcnt lgkmcnt(0)
	v_add_f32_e32 v13, v13, v5
.LBB45_36:
	s_or_b64 exec, exec, s[24:25]
.LBB45_37:
	s_or_b64 exec, exec, s[20:21]
	s_movk_i32 s20, 0xff
	v_cmp_gt_u32_e64 s[20:21], s20, v0
	s_barrier
	ds_write_b32 v10, v13
	s_waitcnt lgkmcnt(0)
	s_barrier
	s_and_saveexec_b64 s[26:27], s[20:21]
	s_cbranch_execz .LBB45_40
; %bb.38:
	ds_read_b64 v[5:6], v9 offset:8
	v_cmp_lt_i64_e64 s[24:25], -1, v[1:2]
	s_waitcnt lgkmcnt(0)
	v_cmp_ne_u64_e32 vcc, v[1:2], v[5:6]
	s_and_b64 s[24:25], s[24:25], vcc
	s_and_b64 exec, exec, s[24:25]
	s_cbranch_execz .LBB45_40
; %bb.39:
	v_lshlrev_b64 v[5:6], 2, v[1:2]
	v_mov_b32_e32 v7, s43
	v_add_co_u32_e32 v5, vcc, s42, v5
	v_addc_co_u32_e32 v6, vcc, v7, v6, vcc
	global_load_dword v7, v[5:6], off
	s_waitcnt vmcnt(0)
	v_fmac_f32_e32 v7, s34, v13
	global_store_dword v[5:6], v7, off
.LBB45_40:
	s_or_b64 exec, exec, s[26:27]
	s_load_dwordx4 s[24:27], s[4:5], 0x38
	v_cmp_lt_i64_e64 s[4:5], s[30:31], 2
	s_and_b64 vcc, exec, s[4:5]
	s_cbranch_vccnz .LBB45_87
; %bb.41:
	s_add_u32 s44, s30, -1
	s_addc_u32 s45, s31, -1
	s_ashr_i32 s4, s40, 31
	s_sub_u32 s5, 0, s40
	s_subb_u32 s4, 0, s4
	s_add_u32 s33, s48, s5
	s_addc_u32 s35, s49, s4
	s_movk_i32 s4, 0x100
	v_add_co_u32_e32 v3, vcc, s4, v3
	s_mul_i32 s4, s31, s6
	s_mul_hi_u32 s5, s30, s6
	s_add_i32 s5, s5, s4
	s_mul_i32 s4, s30, s6
	s_lshl_b64 s[4:5], s[4:5], 12
	s_add_u32 s4, s36, s4
	v_addc_co_u32_e32 v4, vcc, 0, v4, vcc
	v_lshlrev_b32_e32 v1, 4, v0
	s_addc_u32 s5, s37, s5
	v_mov_b32_e32 v2, s5
	v_add_co_u32_e32 v1, vcc, s4, v1
	v_addc_co_u32_e32 v2, vcc, 0, v2, vcc
	s_movk_i32 s4, 0x1008
	v_add_co_u32_e32 v5, vcc, s4, v1
	s_mov_b64 s[46:47], 0
	v_add_u32_e32 v16, 0xffffff80, v9
	v_subrev_u32_e32 v17, 64, v10
	v_add_u32_e32 v18, 0xffffff00, v9
	v_add_u32_e32 v19, 0xffffff80, v10
	;; [unrolled: 1-line block ×6, first 2 shown]
	v_addc_co_u32_e32 v6, vcc, 0, v2, vcc
	v_mov_b32_e32 v24, 0
	s_branch .LBB45_43
.LBB45_42:                              ;   in Loop: Header=BB45_43 Depth=1
	s_or_b64 exec, exec, s[30:31]
	s_add_u32 s46, s46, 1
	v_add_co_u32_e32 v3, vcc, 0x100, v3
	s_addc_u32 s47, s47, 0
	v_mov_b32_e32 v7, s46
	v_addc_co_u32_e32 v4, vcc, 0, v4, vcc
	v_mov_b32_e32 v8, s47
	v_add_co_u32_e32 v5, vcc, 0x1000, v5
	v_cmp_le_u64_e64 s[4:5], s[44:45], v[7:8]
	v_addc_co_u32_e32 v6, vcc, 0, v6, vcc
	s_and_b64 vcc, exec, s[4:5]
	s_cbranch_vccnz .LBB45_87
.LBB45_43:                              ; =>This Inner Loop Header: Depth=1
	v_cmp_gt_i64_e32 vcc, s[28:29], v[3:4]
	v_mov_b32_e32 v1, -1
	v_mov_b32_e32 v2, -1
	v_mov_b32_e32 v13, 0
	s_and_saveexec_b64 s[4:5], vcc
	s_cbranch_execz .LBB45_45
; %bb.44:                               ;   in Loop: Header=BB45_43 Depth=1
	global_load_dwordx4 v[25:28], v[5:6], off offset:-8 glc slc
	v_mov_b32_e32 v2, s39
	v_add_co_u32_e32 v1, vcc, s38, v3
	v_addc_co_u32_e32 v2, vcc, v2, v4, vcc
	v_mov_b32_e32 v7, s35
	global_load_sbyte v8, v[1:2], off glc slc
	s_waitcnt vmcnt(1)
	v_add_co_u32_e32 v1, vcc, s33, v27
	v_addc_co_u32_e32 v2, vcc, v7, v28, vcc
	global_load_sbyte v1, v[1:2], off
	s_waitcnt vmcnt(1)
	v_cvt_f32_i32_e32 v7, v8
	s_waitcnt vmcnt(0)
	v_cvt_f32_i32_e32 v8, v1
	v_subrev_co_u32_e32 v1, vcc, s40, v25
	v_subbrev_co_u32_e32 v2, vcc, 0, v26, vcc
	v_mul_f32_e32 v13, v7, v8
.LBB45_45:                              ;   in Loop: Header=BB45_43 Depth=1
	s_or_b64 exec, exec, s[4:5]
	s_and_saveexec_b64 s[4:5], s[0:1]
	s_cbranch_execz .LBB45_52
; %bb.46:                               ;   in Loop: Header=BB45_43 Depth=1
	ds_read_b64 v[7:8], v24 offset:2040
	s_waitcnt lgkmcnt(0)
	v_cmp_ne_u64_e32 vcc, v[1:2], v[7:8]
	s_and_saveexec_b64 s[30:31], vcc
	s_xor_b64 s[30:31], exec, s[30:31]
	s_cbranch_execz .LBB45_49
; %bb.47:                               ;   in Loop: Header=BB45_43 Depth=1
	v_cmp_gt_i64_e32 vcc, 0, v[7:8]
	s_cbranch_vccnz .LBB45_49
; %bb.48:                               ;   in Loop: Header=BB45_43 Depth=1
	v_lshlrev_b64 v[7:8], 2, v[7:8]
	v_mov_b32_e32 v25, s43
	v_add_co_u32_e32 v7, vcc, s42, v7
	v_addc_co_u32_e32 v8, vcc, v25, v8, vcc
	global_load_dword v25, v[7:8], off
	ds_read_b32 v26, v24 offset:3068
	s_waitcnt vmcnt(0) lgkmcnt(0)
	v_fmac_f32_e32 v25, s34, v26
	global_store_dword v[7:8], v25, off
.LBB45_49:                              ;   in Loop: Header=BB45_43 Depth=1
	s_andn2_saveexec_b64 s[30:31], s[30:31]
	s_cbranch_execz .LBB45_51
; %bb.50:                               ;   in Loop: Header=BB45_43 Depth=1
	ds_read_b32 v7, v24 offset:3068
	s_waitcnt lgkmcnt(0)
	v_add_f32_e32 v13, v13, v7
.LBB45_51:                              ;   in Loop: Header=BB45_43 Depth=1
	s_or_b64 exec, exec, s[30:31]
.LBB45_52:                              ;   in Loop: Header=BB45_43 Depth=1
	s_or_b64 exec, exec, s[4:5]
	s_waitcnt vmcnt(0) lgkmcnt(0)
	s_barrier
	ds_write_b64 v9, v[1:2]
	ds_write_b32 v10, v13
	s_waitcnt lgkmcnt(0)
	s_barrier
	s_and_saveexec_b64 s[4:5], s[2:3]
	s_cbranch_execz .LBB45_56
; %bb.53:                               ;   in Loop: Header=BB45_43 Depth=1
	ds_read_b64 v[7:8], v11
	s_waitcnt lgkmcnt(0)
	v_cmp_eq_u64_e32 vcc, v[1:2], v[7:8]
	s_and_saveexec_b64 s[30:31], vcc
	s_cbranch_execz .LBB45_55
; %bb.54:                               ;   in Loop: Header=BB45_43 Depth=1
	v_add_u32_e32 v7, -4, v10
	ds_read_b32 v7, v7
	s_waitcnt lgkmcnt(0)
	v_add_f32_e32 v13, v13, v7
.LBB45_55:                              ;   in Loop: Header=BB45_43 Depth=1
	s_or_b64 exec, exec, s[30:31]
.LBB45_56:                              ;   in Loop: Header=BB45_43 Depth=1
	s_or_b64 exec, exec, s[4:5]
	s_barrier
	ds_write_b32 v10, v13
	s_waitcnt lgkmcnt(0)
	s_barrier
	s_and_saveexec_b64 s[4:5], s[22:23]
	s_cbranch_execz .LBB45_60
; %bb.57:                               ;   in Loop: Header=BB45_43 Depth=1
	ds_read_b64 v[7:8], v12
	s_waitcnt lgkmcnt(0)
	v_cmp_eq_u64_e32 vcc, v[1:2], v[7:8]
	s_and_saveexec_b64 s[30:31], vcc
	s_cbranch_execz .LBB45_59
; %bb.58:                               ;   in Loop: Header=BB45_43 Depth=1
	v_add_u32_e32 v7, -8, v10
	ds_read_b32 v7, v7
	s_waitcnt lgkmcnt(0)
	v_add_f32_e32 v13, v13, v7
.LBB45_59:                              ;   in Loop: Header=BB45_43 Depth=1
	s_or_b64 exec, exec, s[30:31]
.LBB45_60:                              ;   in Loop: Header=BB45_43 Depth=1
	s_or_b64 exec, exec, s[4:5]
	s_barrier
	;; [unrolled: 21-line block ×3, first 2 shown]
	ds_write_b32 v10, v13
	s_waitcnt lgkmcnt(0)
	s_barrier
	s_and_saveexec_b64 s[4:5], s[10:11]
	s_cbranch_execz .LBB45_68
; %bb.65:                               ;   in Loop: Header=BB45_43 Depth=1
	ds_read_b64 v[7:8], v15
	s_waitcnt lgkmcnt(0)
	v_cmp_eq_u64_e32 vcc, v[1:2], v[7:8]
	s_and_saveexec_b64 s[30:31], vcc
	s_cbranch_execz .LBB45_67
; %bb.66:                               ;   in Loop: Header=BB45_43 Depth=1
	v_subrev_u32_e32 v7, 32, v10
	ds_read_b32 v7, v7
	s_waitcnt lgkmcnt(0)
	v_add_f32_e32 v13, v13, v7
.LBB45_67:                              ;   in Loop: Header=BB45_43 Depth=1
	s_or_b64 exec, exec, s[30:31]
.LBB45_68:                              ;   in Loop: Header=BB45_43 Depth=1
	s_or_b64 exec, exec, s[4:5]
	s_barrier
	ds_write_b32 v10, v13
	s_waitcnt lgkmcnt(0)
	s_barrier
	s_and_saveexec_b64 s[4:5], s[12:13]
	s_cbranch_execz .LBB45_72
; %bb.69:                               ;   in Loop: Header=BB45_43 Depth=1
	ds_read_b64 v[7:8], v16
	s_waitcnt lgkmcnt(0)
	v_cmp_eq_u64_e32 vcc, v[1:2], v[7:8]
	s_and_saveexec_b64 s[30:31], vcc
	s_cbranch_execz .LBB45_71
; %bb.70:                               ;   in Loop: Header=BB45_43 Depth=1
	ds_read_b32 v7, v17
	s_waitcnt lgkmcnt(0)
	v_add_f32_e32 v13, v13, v7
.LBB45_71:                              ;   in Loop: Header=BB45_43 Depth=1
	s_or_b64 exec, exec, s[30:31]
.LBB45_72:                              ;   in Loop: Header=BB45_43 Depth=1
	s_or_b64 exec, exec, s[4:5]
	s_barrier
	ds_write_b32 v10, v13
	s_waitcnt lgkmcnt(0)
	s_barrier
	s_and_saveexec_b64 s[4:5], s[14:15]
	s_cbranch_execz .LBB45_76
; %bb.73:                               ;   in Loop: Header=BB45_43 Depth=1
	ds_read_b64 v[7:8], v18
	s_waitcnt lgkmcnt(0)
	v_cmp_eq_u64_e32 vcc, v[1:2], v[7:8]
	s_and_saveexec_b64 s[30:31], vcc
	s_cbranch_execz .LBB45_75
; %bb.74:                               ;   in Loop: Header=BB45_43 Depth=1
	ds_read_b32 v7, v19
	s_waitcnt lgkmcnt(0)
	v_add_f32_e32 v13, v13, v7
.LBB45_75:                              ;   in Loop: Header=BB45_43 Depth=1
	s_or_b64 exec, exec, s[30:31]
.LBB45_76:                              ;   in Loop: Header=BB45_43 Depth=1
	;; [unrolled: 20-line block ×4, first 2 shown]
	s_or_b64 exec, exec, s[4:5]
	s_barrier
	ds_write_b32 v10, v13
	s_waitcnt lgkmcnt(0)
	s_barrier
	s_and_saveexec_b64 s[30:31], s[20:21]
	s_cbranch_execz .LBB45_42
; %bb.85:                               ;   in Loop: Header=BB45_43 Depth=1
	ds_read_b64 v[7:8], v9 offset:8
	v_cmp_lt_i64_e64 s[4:5], -1, v[1:2]
	s_waitcnt lgkmcnt(0)
	v_cmp_ne_u64_e32 vcc, v[1:2], v[7:8]
	s_and_b64 s[4:5], s[4:5], vcc
	s_and_b64 exec, exec, s[4:5]
	s_cbranch_execz .LBB45_42
; %bb.86:                               ;   in Loop: Header=BB45_43 Depth=1
	v_lshlrev_b64 v[7:8], 2, v[1:2]
	v_mov_b32_e32 v25, s43
	v_add_co_u32_e32 v7, vcc, s42, v7
	v_addc_co_u32_e32 v8, vcc, v25, v8, vcc
	global_load_dword v25, v[7:8], off
	s_waitcnt vmcnt(0)
	v_fmac_f32_e32 v25, s34, v13
	global_store_dword v[7:8], v25, off
	s_branch .LBB45_42
.LBB45_87:
	s_movk_i32 s0, 0xff
	v_cmp_eq_u32_e32 vcc, s0, v0
	s_and_saveexec_b64 s[0:1], vcc
	s_cbranch_execz .LBB45_89
; %bb.88:
	s_lshl_b64 s[0:1], s[6:7], 3
	s_waitcnt lgkmcnt(0)
	s_add_u32 s0, s24, s0
	s_addc_u32 s1, s25, s1
	s_lshl_b64 s[2:3], s[6:7], 2
	v_mov_b32_e32 v0, 0
	s_add_u32 s2, s26, s2
	v_mul_f32_e32 v3, s34, v13
	s_addc_u32 s3, s27, s3
	global_store_dwordx2 v0, v[1:2], s[0:1] glc slc
	global_store_dword v0, v3, s[2:3] glc slc
.LBB45_89:
	s_endpgm
	.section	.rodata,"a",@progbits
	.p2align	6, 0x0
	.amdhsa_kernel _ZN9rocsparseL26coomvn_aos_segmented_loopsILj256ElaaffEEvlT0_NS_24const_host_device_scalarIT4_EEPKS1_PKT1_PKT2_PT3_PS1_PS3_21rocsparse_index_base_b
		.amdhsa_group_segment_fixed_size 3072
		.amdhsa_private_segment_fixed_size 0
		.amdhsa_kernarg_size 80
		.amdhsa_user_sgpr_count 6
		.amdhsa_user_sgpr_private_segment_buffer 1
		.amdhsa_user_sgpr_dispatch_ptr 0
		.amdhsa_user_sgpr_queue_ptr 0
		.amdhsa_user_sgpr_kernarg_segment_ptr 1
		.amdhsa_user_sgpr_dispatch_id 0
		.amdhsa_user_sgpr_flat_scratch_init 0
		.amdhsa_user_sgpr_private_segment_size 0
		.amdhsa_uses_dynamic_stack 0
		.amdhsa_system_sgpr_private_segment_wavefront_offset 0
		.amdhsa_system_sgpr_workgroup_id_x 1
		.amdhsa_system_sgpr_workgroup_id_y 0
		.amdhsa_system_sgpr_workgroup_id_z 0
		.amdhsa_system_sgpr_workgroup_info 0
		.amdhsa_system_vgpr_workitem_id 0
		.amdhsa_next_free_vgpr 29
		.amdhsa_next_free_sgpr 50
		.amdhsa_reserve_vcc 1
		.amdhsa_reserve_flat_scratch 0
		.amdhsa_float_round_mode_32 0
		.amdhsa_float_round_mode_16_64 0
		.amdhsa_float_denorm_mode_32 3
		.amdhsa_float_denorm_mode_16_64 3
		.amdhsa_dx10_clamp 1
		.amdhsa_ieee_mode 1
		.amdhsa_fp16_overflow 0
		.amdhsa_exception_fp_ieee_invalid_op 0
		.amdhsa_exception_fp_denorm_src 0
		.amdhsa_exception_fp_ieee_div_zero 0
		.amdhsa_exception_fp_ieee_overflow 0
		.amdhsa_exception_fp_ieee_underflow 0
		.amdhsa_exception_fp_ieee_inexact 0
		.amdhsa_exception_int_div_zero 0
	.end_amdhsa_kernel
	.section	.text._ZN9rocsparseL26coomvn_aos_segmented_loopsILj256ElaaffEEvlT0_NS_24const_host_device_scalarIT4_EEPKS1_PKT1_PKT2_PT3_PS1_PS3_21rocsparse_index_base_b,"axG",@progbits,_ZN9rocsparseL26coomvn_aos_segmented_loopsILj256ElaaffEEvlT0_NS_24const_host_device_scalarIT4_EEPKS1_PKT1_PKT2_PT3_PS1_PS3_21rocsparse_index_base_b,comdat
.Lfunc_end45:
	.size	_ZN9rocsparseL26coomvn_aos_segmented_loopsILj256ElaaffEEvlT0_NS_24const_host_device_scalarIT4_EEPKS1_PKT1_PKT2_PT3_PS1_PS3_21rocsparse_index_base_b, .Lfunc_end45-_ZN9rocsparseL26coomvn_aos_segmented_loopsILj256ElaaffEEvlT0_NS_24const_host_device_scalarIT4_EEPKS1_PKT1_PKT2_PT3_PS1_PS3_21rocsparse_index_base_b
                                        ; -- End function
	.set _ZN9rocsparseL26coomvn_aos_segmented_loopsILj256ElaaffEEvlT0_NS_24const_host_device_scalarIT4_EEPKS1_PKT1_PKT2_PT3_PS1_PS3_21rocsparse_index_base_b.num_vgpr, 29
	.set _ZN9rocsparseL26coomvn_aos_segmented_loopsILj256ElaaffEEvlT0_NS_24const_host_device_scalarIT4_EEPKS1_PKT1_PKT2_PT3_PS1_PS3_21rocsparse_index_base_b.num_agpr, 0
	.set _ZN9rocsparseL26coomvn_aos_segmented_loopsILj256ElaaffEEvlT0_NS_24const_host_device_scalarIT4_EEPKS1_PKT1_PKT2_PT3_PS1_PS3_21rocsparse_index_base_b.numbered_sgpr, 50
	.set _ZN9rocsparseL26coomvn_aos_segmented_loopsILj256ElaaffEEvlT0_NS_24const_host_device_scalarIT4_EEPKS1_PKT1_PKT2_PT3_PS1_PS3_21rocsparse_index_base_b.num_named_barrier, 0
	.set _ZN9rocsparseL26coomvn_aos_segmented_loopsILj256ElaaffEEvlT0_NS_24const_host_device_scalarIT4_EEPKS1_PKT1_PKT2_PT3_PS1_PS3_21rocsparse_index_base_b.private_seg_size, 0
	.set _ZN9rocsparseL26coomvn_aos_segmented_loopsILj256ElaaffEEvlT0_NS_24const_host_device_scalarIT4_EEPKS1_PKT1_PKT2_PT3_PS1_PS3_21rocsparse_index_base_b.uses_vcc, 1
	.set _ZN9rocsparseL26coomvn_aos_segmented_loopsILj256ElaaffEEvlT0_NS_24const_host_device_scalarIT4_EEPKS1_PKT1_PKT2_PT3_PS1_PS3_21rocsparse_index_base_b.uses_flat_scratch, 0
	.set _ZN9rocsparseL26coomvn_aos_segmented_loopsILj256ElaaffEEvlT0_NS_24const_host_device_scalarIT4_EEPKS1_PKT1_PKT2_PT3_PS1_PS3_21rocsparse_index_base_b.has_dyn_sized_stack, 0
	.set _ZN9rocsparseL26coomvn_aos_segmented_loopsILj256ElaaffEEvlT0_NS_24const_host_device_scalarIT4_EEPKS1_PKT1_PKT2_PT3_PS1_PS3_21rocsparse_index_base_b.has_recursion, 0
	.set _ZN9rocsparseL26coomvn_aos_segmented_loopsILj256ElaaffEEvlT0_NS_24const_host_device_scalarIT4_EEPKS1_PKT1_PKT2_PT3_PS1_PS3_21rocsparse_index_base_b.has_indirect_call, 0
	.section	.AMDGPU.csdata,"",@progbits
; Kernel info:
; codeLenInByte = 2516
; TotalNumSgprs: 54
; NumVgprs: 29
; ScratchSize: 0
; MemoryBound: 0
; FloatMode: 240
; IeeeMode: 1
; LDSByteSize: 3072 bytes/workgroup (compile time only)
; SGPRBlocks: 6
; VGPRBlocks: 7
; NumSGPRsForWavesPerEU: 54
; NumVGPRsForWavesPerEU: 29
; Occupancy: 8
; WaveLimiterHint : 1
; COMPUTE_PGM_RSRC2:SCRATCH_EN: 0
; COMPUTE_PGM_RSRC2:USER_SGPR: 6
; COMPUTE_PGM_RSRC2:TRAP_HANDLER: 0
; COMPUTE_PGM_RSRC2:TGID_X_EN: 1
; COMPUTE_PGM_RSRC2:TGID_Y_EN: 0
; COMPUTE_PGM_RSRC2:TGID_Z_EN: 0
; COMPUTE_PGM_RSRC2:TIDIG_COMP_CNT: 0
	.section	.text._ZN9rocsparseL23coomvn_aos_atomic_loopsILj256ELj1EiDF16_DF16_ffEEvlNS_24const_host_device_scalarIT5_EEPKT1_PKT2_PKT3_PT4_21rocsparse_index_base_b,"axG",@progbits,_ZN9rocsparseL23coomvn_aos_atomic_loopsILj256ELj1EiDF16_DF16_ffEEvlNS_24const_host_device_scalarIT5_EEPKT1_PKT2_PKT3_PT4_21rocsparse_index_base_b,comdat
	.globl	_ZN9rocsparseL23coomvn_aos_atomic_loopsILj256ELj1EiDF16_DF16_ffEEvlNS_24const_host_device_scalarIT5_EEPKT1_PKT2_PKT3_PT4_21rocsparse_index_base_b ; -- Begin function _ZN9rocsparseL23coomvn_aos_atomic_loopsILj256ELj1EiDF16_DF16_ffEEvlNS_24const_host_device_scalarIT5_EEPKT1_PKT2_PKT3_PT4_21rocsparse_index_base_b
	.p2align	8
	.type	_ZN9rocsparseL23coomvn_aos_atomic_loopsILj256ELj1EiDF16_DF16_ffEEvlNS_24const_host_device_scalarIT5_EEPKT1_PKT2_PKT3_PT4_21rocsparse_index_base_b,@function
_ZN9rocsparseL23coomvn_aos_atomic_loopsILj256ELj1EiDF16_DF16_ffEEvlNS_24const_host_device_scalarIT5_EEPKT1_PKT2_PKT3_PT4_21rocsparse_index_base_b: ; @_ZN9rocsparseL23coomvn_aos_atomic_loopsILj256ELj1EiDF16_DF16_ffEEvlNS_24const_host_device_scalarIT5_EEPKT1_PKT2_PKT3_PT4_21rocsparse_index_base_b
; %bb.0:
	s_load_dwordx2 s[8:9], s[4:5], 0x30
	s_load_dwordx4 s[0:3], s[4:5], 0x0
	s_waitcnt lgkmcnt(0)
	s_bitcmp1_b32 s9, 0
	s_cselect_b64 s[10:11], -1, 0
	s_and_b64 vcc, exec, s[10:11]
	s_cbranch_vccnz .LBB46_2
; %bb.1:
	s_load_dword s2, s[2:3], 0x0
.LBB46_2:
	s_waitcnt lgkmcnt(0)
	v_cmp_eq_f32_e64 s[10:11], s2, 0
	s_and_b64 vcc, exec, s[10:11]
	s_cbranch_vccnz .LBB46_44
; %bb.3:
	v_lshl_or_b32 v1, s6, 8, v0
	v_mov_b32_e32 v2, 0
	v_cmp_gt_i64_e32 vcc, s[0:1], v[1:2]
	v_mov_b32_e32 v3, -1
	s_and_saveexec_b64 s[0:1], vcc
	s_cbranch_execz .LBB46_5
; %bb.4:
	s_load_dwordx4 s[12:15], s[4:5], 0x10
	s_load_dwordx2 s[6:7], s[4:5], 0x20
	v_lshlrev_b64 v[3:4], 3, v[1:2]
	v_lshlrev_b64 v[1:2], 1, v[1:2]
	s_waitcnt lgkmcnt(0)
	v_mov_b32_e32 v5, s13
	v_add_co_u32_e32 v3, vcc, s12, v3
	v_addc_co_u32_e32 v4, vcc, v5, v4, vcc
	global_load_dwordx2 v[3:4], v[3:4], off glc slc
	v_mov_b32_e32 v5, s15
	v_add_co_u32_e32 v1, vcc, s14, v1
	v_addc_co_u32_e32 v2, vcc, v5, v2, vcc
	global_load_ushort v5, v[1:2], off
	v_mov_b32_e32 v6, s7
	s_waitcnt vmcnt(1)
	v_subrev_u32_e32 v1, s8, v4
	v_ashrrev_i32_e32 v2, 31, v1
	v_lshlrev_b64 v[1:2], 1, v[1:2]
	v_subrev_u32_e32 v3, s8, v3
	v_add_co_u32_e32 v1, vcc, s6, v1
	v_addc_co_u32_e32 v2, vcc, v6, v2, vcc
	global_load_ushort v1, v[1:2], off
	s_waitcnt vmcnt(1)
	v_cvt_f32_f16_e32 v2, v5
	s_waitcnt vmcnt(0)
	v_cvt_f32_f16_e32 v1, v1
	v_mul_f32_e32 v2, v2, v1
.LBB46_5:
	s_or_b64 exec, exec, s[0:1]
	v_lshlrev_b32_e32 v1, 2, v0
	v_or_b32_e32 v4, 0x400, v1
	v_cmp_ne_u32_e32 vcc, 0, v0
	ds_write2st64_b32 v1, v3, v2 offset1:4
	s_waitcnt lgkmcnt(0)
	s_barrier
	s_and_saveexec_b64 s[0:1], vcc
	s_cbranch_execz .LBB46_9
; %bb.6:
	v_add_u32_e32 v5, -4, v1
	ds_read_b32 v5, v5
	s_waitcnt lgkmcnt(0)
	v_cmp_eq_u32_e32 vcc, v3, v5
	s_and_saveexec_b64 s[6:7], vcc
	s_cbranch_execz .LBB46_8
; %bb.7:
	v_add_u32_e32 v5, -4, v4
	ds_read_b32 v5, v5
	s_waitcnt lgkmcnt(0)
	v_add_f32_e32 v2, v2, v5
.LBB46_8:
	s_or_b64 exec, exec, s[6:7]
.LBB46_9:
	s_or_b64 exec, exec, s[0:1]
	v_cmp_lt_u32_e32 vcc, 1, v0
	s_barrier
	ds_write_b32 v4, v2
	s_waitcnt lgkmcnt(0)
	s_barrier
	s_and_saveexec_b64 s[0:1], vcc
	s_cbranch_execz .LBB46_13
; %bb.10:
	v_add_u32_e32 v5, -8, v1
	ds_read_b32 v5, v5
	s_waitcnt lgkmcnt(0)
	v_cmp_eq_u32_e32 vcc, v3, v5
	s_and_saveexec_b64 s[6:7], vcc
	s_cbranch_execz .LBB46_12
; %bb.11:
	v_add_u32_e32 v5, -8, v4
	ds_read_b32 v5, v5
	s_waitcnt lgkmcnt(0)
	v_add_f32_e32 v2, v2, v5
.LBB46_12:
	s_or_b64 exec, exec, s[6:7]
.LBB46_13:
	s_or_b64 exec, exec, s[0:1]
	v_cmp_lt_u32_e32 vcc, 3, v0
	s_barrier
	ds_write_b32 v4, v2
	;; [unrolled: 23-line block ×3, first 2 shown]
	s_waitcnt lgkmcnt(0)
	s_barrier
	s_and_saveexec_b64 s[0:1], vcc
	s_cbranch_execz .LBB46_21
; %bb.18:
	v_subrev_u32_e32 v5, 32, v1
	ds_read_b32 v5, v5
	s_waitcnt lgkmcnt(0)
	v_cmp_eq_u32_e32 vcc, v3, v5
	s_and_saveexec_b64 s[6:7], vcc
	s_cbranch_execz .LBB46_20
; %bb.19:
	v_subrev_u32_e32 v5, 32, v4
	ds_read_b32 v5, v5
	s_waitcnt lgkmcnt(0)
	v_add_f32_e32 v2, v2, v5
.LBB46_20:
	s_or_b64 exec, exec, s[6:7]
.LBB46_21:
	s_or_b64 exec, exec, s[0:1]
	v_cmp_lt_u32_e32 vcc, 15, v0
	s_barrier
	ds_write_b32 v4, v2
	s_waitcnt lgkmcnt(0)
	s_barrier
	s_and_saveexec_b64 s[0:1], vcc
	s_cbranch_execz .LBB46_25
; %bb.22:
	v_subrev_u32_e32 v5, 64, v1
	ds_read_b32 v5, v5
	s_waitcnt lgkmcnt(0)
	v_cmp_eq_u32_e32 vcc, v3, v5
	s_and_saveexec_b64 s[6:7], vcc
	s_cbranch_execz .LBB46_24
; %bb.23:
	v_subrev_u32_e32 v5, 64, v4
	ds_read_b32 v5, v5
	s_waitcnt lgkmcnt(0)
	v_add_f32_e32 v2, v2, v5
.LBB46_24:
	s_or_b64 exec, exec, s[6:7]
.LBB46_25:
	s_or_b64 exec, exec, s[0:1]
	v_cmp_lt_u32_e32 vcc, 31, v0
	s_barrier
	ds_write_b32 v4, v2
	s_waitcnt lgkmcnt(0)
	s_barrier
	s_and_saveexec_b64 s[0:1], vcc
	s_cbranch_execz .LBB46_29
; %bb.26:
	v_add_u32_e32 v5, 0xffffff80, v1
	ds_read_b32 v5, v5
	s_waitcnt lgkmcnt(0)
	v_cmp_eq_u32_e32 vcc, v3, v5
	s_and_saveexec_b64 s[6:7], vcc
	s_cbranch_execz .LBB46_28
; %bb.27:
	v_add_u32_e32 v5, 0xffffff80, v4
	ds_read_b32 v5, v5
	s_waitcnt lgkmcnt(0)
	v_add_f32_e32 v2, v2, v5
.LBB46_28:
	s_or_b64 exec, exec, s[6:7]
.LBB46_29:
	s_or_b64 exec, exec, s[0:1]
	v_cmp_lt_u32_e32 vcc, 63, v0
	s_barrier
	ds_write_b32 v4, v2
	s_waitcnt lgkmcnt(0)
	s_barrier
	s_and_saveexec_b64 s[0:1], vcc
	s_cbranch_execz .LBB46_33
; %bb.30:
	v_add_u32_e32 v5, 0xffffff00, v1
	ds_read_b32 v5, v5
	s_waitcnt lgkmcnt(0)
	v_cmp_eq_u32_e32 vcc, v3, v5
	s_and_saveexec_b64 s[6:7], vcc
	s_cbranch_execz .LBB46_32
; %bb.31:
	v_add_u32_e32 v5, 0xffffff00, v4
	ds_read_b32 v5, v5
	s_waitcnt lgkmcnt(0)
	v_add_f32_e32 v2, v2, v5
.LBB46_32:
	s_or_b64 exec, exec, s[6:7]
.LBB46_33:
	s_or_b64 exec, exec, s[0:1]
	s_load_dwordx2 s[4:5], s[4:5], 0x28
	s_movk_i32 s0, 0x7f
	v_cmp_lt_u32_e32 vcc, s0, v0
	s_waitcnt lgkmcnt(0)
	s_barrier
	ds_write_b32 v4, v2
	s_waitcnt lgkmcnt(0)
	s_barrier
	s_and_saveexec_b64 s[0:1], vcc
	s_cbranch_execz .LBB46_37
; %bb.34:
	v_add_u32_e32 v5, 0xfffffe00, v1
	ds_read_b32 v5, v5
	s_waitcnt lgkmcnt(0)
	v_cmp_eq_u32_e32 vcc, v3, v5
	s_and_saveexec_b64 s[6:7], vcc
	s_cbranch_execz .LBB46_36
; %bb.35:
	v_add_u32_e32 v5, 0xfffffe00, v4
	ds_read_b32 v5, v5
	s_waitcnt lgkmcnt(0)
	v_add_f32_e32 v2, v2, v5
.LBB46_36:
	s_or_b64 exec, exec, s[6:7]
.LBB46_37:
	s_or_b64 exec, exec, s[0:1]
	s_movk_i32 s3, 0xff
	v_cmp_gt_u32_e32 vcc, s3, v0
	s_barrier
	ds_write_b32 v4, v2
	s_waitcnt lgkmcnt(0)
	s_barrier
	s_and_saveexec_b64 s[6:7], vcc
	s_cbranch_execz .LBB46_41
; %bb.38:
	ds_read_b32 v1, v1 offset:4
	v_cmp_lt_i32_e64 s[0:1], -1, v3
	s_waitcnt lgkmcnt(0)
	v_cmp_ne_u32_e32 vcc, v3, v1
	s_and_b64 s[0:1], s[0:1], vcc
	s_and_b64 exec, exec, s[0:1]
	s_cbranch_execz .LBB46_41
; %bb.39:
	v_mov_b32_e32 v4, 0
	v_lshlrev_b64 v[4:5], 2, v[3:4]
	v_mov_b32_e32 v1, s5
	v_add_co_u32_e32 v4, vcc, s4, v4
	v_addc_co_u32_e32 v5, vcc, v1, v5, vcc
	global_load_dword v7, v[4:5], off
	v_mul_f32_e32 v1, s2, v2
	s_mov_b64 s[0:1], 0
.LBB46_40:                              ; =>This Inner Loop Header: Depth=1
	s_waitcnt vmcnt(0)
	v_add_f32_e32 v6, v7, v1
	global_atomic_cmpswap v6, v[4:5], v[6:7], off glc
	s_waitcnt vmcnt(0)
	v_cmp_eq_u32_e32 vcc, v6, v7
	s_or_b64 s[0:1], vcc, s[0:1]
	v_mov_b32_e32 v7, v6
	s_andn2_b64 exec, exec, s[0:1]
	s_cbranch_execnz .LBB46_40
.LBB46_41:
	s_or_b64 exec, exec, s[6:7]
	v_cmp_eq_u32_e32 vcc, s3, v0
	v_cmp_lt_i32_e64 s[0:1], -1, v3
	s_and_b64 s[0:1], vcc, s[0:1]
	s_and_saveexec_b64 s[6:7], s[0:1]
	s_cbranch_execz .LBB46_44
; %bb.42:
	v_mov_b32_e32 v4, 0
	v_lshlrev_b64 v[0:1], 2, v[3:4]
	v_mov_b32_e32 v3, s5
	v_add_co_u32_e32 v0, vcc, s4, v0
	v_addc_co_u32_e32 v1, vcc, v3, v1, vcc
	global_load_dword v3, v[0:1], off
	v_mul_f32_e32 v4, s2, v2
	s_mov_b64 s[0:1], 0
.LBB46_43:                              ; =>This Inner Loop Header: Depth=1
	s_waitcnt vmcnt(0)
	v_add_f32_e32 v2, v3, v4
	global_atomic_cmpswap v2, v[0:1], v[2:3], off glc
	s_waitcnt vmcnt(0)
	v_cmp_eq_u32_e32 vcc, v2, v3
	s_or_b64 s[0:1], vcc, s[0:1]
	v_mov_b32_e32 v3, v2
	s_andn2_b64 exec, exec, s[0:1]
	s_cbranch_execnz .LBB46_43
.LBB46_44:
	s_endpgm
	.section	.rodata,"a",@progbits
	.p2align	6, 0x0
	.amdhsa_kernel _ZN9rocsparseL23coomvn_aos_atomic_loopsILj256ELj1EiDF16_DF16_ffEEvlNS_24const_host_device_scalarIT5_EEPKT1_PKT2_PKT3_PT4_21rocsparse_index_base_b
		.amdhsa_group_segment_fixed_size 2048
		.amdhsa_private_segment_fixed_size 0
		.amdhsa_kernarg_size 56
		.amdhsa_user_sgpr_count 6
		.amdhsa_user_sgpr_private_segment_buffer 1
		.amdhsa_user_sgpr_dispatch_ptr 0
		.amdhsa_user_sgpr_queue_ptr 0
		.amdhsa_user_sgpr_kernarg_segment_ptr 1
		.amdhsa_user_sgpr_dispatch_id 0
		.amdhsa_user_sgpr_flat_scratch_init 0
		.amdhsa_user_sgpr_private_segment_size 0
		.amdhsa_uses_dynamic_stack 0
		.amdhsa_system_sgpr_private_segment_wavefront_offset 0
		.amdhsa_system_sgpr_workgroup_id_x 1
		.amdhsa_system_sgpr_workgroup_id_y 0
		.amdhsa_system_sgpr_workgroup_id_z 0
		.amdhsa_system_sgpr_workgroup_info 0
		.amdhsa_system_vgpr_workitem_id 0
		.amdhsa_next_free_vgpr 8
		.amdhsa_next_free_sgpr 16
		.amdhsa_reserve_vcc 1
		.amdhsa_reserve_flat_scratch 0
		.amdhsa_float_round_mode_32 0
		.amdhsa_float_round_mode_16_64 0
		.amdhsa_float_denorm_mode_32 3
		.amdhsa_float_denorm_mode_16_64 3
		.amdhsa_dx10_clamp 1
		.amdhsa_ieee_mode 1
		.amdhsa_fp16_overflow 0
		.amdhsa_exception_fp_ieee_invalid_op 0
		.amdhsa_exception_fp_denorm_src 0
		.amdhsa_exception_fp_ieee_div_zero 0
		.amdhsa_exception_fp_ieee_overflow 0
		.amdhsa_exception_fp_ieee_underflow 0
		.amdhsa_exception_fp_ieee_inexact 0
		.amdhsa_exception_int_div_zero 0
	.end_amdhsa_kernel
	.section	.text._ZN9rocsparseL23coomvn_aos_atomic_loopsILj256ELj1EiDF16_DF16_ffEEvlNS_24const_host_device_scalarIT5_EEPKT1_PKT2_PKT3_PT4_21rocsparse_index_base_b,"axG",@progbits,_ZN9rocsparseL23coomvn_aos_atomic_loopsILj256ELj1EiDF16_DF16_ffEEvlNS_24const_host_device_scalarIT5_EEPKT1_PKT2_PKT3_PT4_21rocsparse_index_base_b,comdat
.Lfunc_end46:
	.size	_ZN9rocsparseL23coomvn_aos_atomic_loopsILj256ELj1EiDF16_DF16_ffEEvlNS_24const_host_device_scalarIT5_EEPKT1_PKT2_PKT3_PT4_21rocsparse_index_base_b, .Lfunc_end46-_ZN9rocsparseL23coomvn_aos_atomic_loopsILj256ELj1EiDF16_DF16_ffEEvlNS_24const_host_device_scalarIT5_EEPKT1_PKT2_PKT3_PT4_21rocsparse_index_base_b
                                        ; -- End function
	.set _ZN9rocsparseL23coomvn_aos_atomic_loopsILj256ELj1EiDF16_DF16_ffEEvlNS_24const_host_device_scalarIT5_EEPKT1_PKT2_PKT3_PT4_21rocsparse_index_base_b.num_vgpr, 8
	.set _ZN9rocsparseL23coomvn_aos_atomic_loopsILj256ELj1EiDF16_DF16_ffEEvlNS_24const_host_device_scalarIT5_EEPKT1_PKT2_PKT3_PT4_21rocsparse_index_base_b.num_agpr, 0
	.set _ZN9rocsparseL23coomvn_aos_atomic_loopsILj256ELj1EiDF16_DF16_ffEEvlNS_24const_host_device_scalarIT5_EEPKT1_PKT2_PKT3_PT4_21rocsparse_index_base_b.numbered_sgpr, 16
	.set _ZN9rocsparseL23coomvn_aos_atomic_loopsILj256ELj1EiDF16_DF16_ffEEvlNS_24const_host_device_scalarIT5_EEPKT1_PKT2_PKT3_PT4_21rocsparse_index_base_b.num_named_barrier, 0
	.set _ZN9rocsparseL23coomvn_aos_atomic_loopsILj256ELj1EiDF16_DF16_ffEEvlNS_24const_host_device_scalarIT5_EEPKT1_PKT2_PKT3_PT4_21rocsparse_index_base_b.private_seg_size, 0
	.set _ZN9rocsparseL23coomvn_aos_atomic_loopsILj256ELj1EiDF16_DF16_ffEEvlNS_24const_host_device_scalarIT5_EEPKT1_PKT2_PKT3_PT4_21rocsparse_index_base_b.uses_vcc, 1
	.set _ZN9rocsparseL23coomvn_aos_atomic_loopsILj256ELj1EiDF16_DF16_ffEEvlNS_24const_host_device_scalarIT5_EEPKT1_PKT2_PKT3_PT4_21rocsparse_index_base_b.uses_flat_scratch, 0
	.set _ZN9rocsparseL23coomvn_aos_atomic_loopsILj256ELj1EiDF16_DF16_ffEEvlNS_24const_host_device_scalarIT5_EEPKT1_PKT2_PKT3_PT4_21rocsparse_index_base_b.has_dyn_sized_stack, 0
	.set _ZN9rocsparseL23coomvn_aos_atomic_loopsILj256ELj1EiDF16_DF16_ffEEvlNS_24const_host_device_scalarIT5_EEPKT1_PKT2_PKT3_PT4_21rocsparse_index_base_b.has_recursion, 0
	.set _ZN9rocsparseL23coomvn_aos_atomic_loopsILj256ELj1EiDF16_DF16_ffEEvlNS_24const_host_device_scalarIT5_EEPKT1_PKT2_PKT3_PT4_21rocsparse_index_base_b.has_indirect_call, 0
	.section	.AMDGPU.csdata,"",@progbits
; Kernel info:
; codeLenInByte = 1252
; TotalNumSgprs: 20
; NumVgprs: 8
; ScratchSize: 0
; MemoryBound: 0
; FloatMode: 240
; IeeeMode: 1
; LDSByteSize: 2048 bytes/workgroup (compile time only)
; SGPRBlocks: 2
; VGPRBlocks: 1
; NumSGPRsForWavesPerEU: 20
; NumVGPRsForWavesPerEU: 8
; Occupancy: 10
; WaveLimiterHint : 1
; COMPUTE_PGM_RSRC2:SCRATCH_EN: 0
; COMPUTE_PGM_RSRC2:USER_SGPR: 6
; COMPUTE_PGM_RSRC2:TRAP_HANDLER: 0
; COMPUTE_PGM_RSRC2:TGID_X_EN: 1
; COMPUTE_PGM_RSRC2:TGID_Y_EN: 0
; COMPUTE_PGM_RSRC2:TGID_Z_EN: 0
; COMPUTE_PGM_RSRC2:TIDIG_COMP_CNT: 0
	.section	.text._ZN9rocsparseL17coomvt_aos_kernelILj1024EiDF16_DF16_ffEEv20rocsparse_operation_lNS_24const_host_device_scalarIT4_EEPKT0_PKT1_PKT2_PT3_21rocsparse_index_base_b,"axG",@progbits,_ZN9rocsparseL17coomvt_aos_kernelILj1024EiDF16_DF16_ffEEv20rocsparse_operation_lNS_24const_host_device_scalarIT4_EEPKT0_PKT1_PKT2_PT3_21rocsparse_index_base_b,comdat
	.globl	_ZN9rocsparseL17coomvt_aos_kernelILj1024EiDF16_DF16_ffEEv20rocsparse_operation_lNS_24const_host_device_scalarIT4_EEPKT0_PKT1_PKT2_PT3_21rocsparse_index_base_b ; -- Begin function _ZN9rocsparseL17coomvt_aos_kernelILj1024EiDF16_DF16_ffEEv20rocsparse_operation_lNS_24const_host_device_scalarIT4_EEPKT0_PKT1_PKT2_PT3_21rocsparse_index_base_b
	.p2align	8
	.type	_ZN9rocsparseL17coomvt_aos_kernelILj1024EiDF16_DF16_ffEEv20rocsparse_operation_lNS_24const_host_device_scalarIT4_EEPKT0_PKT1_PKT2_PT3_21rocsparse_index_base_b,@function
_ZN9rocsparseL17coomvt_aos_kernelILj1024EiDF16_DF16_ffEEv20rocsparse_operation_lNS_24const_host_device_scalarIT4_EEPKT0_PKT1_PKT2_PT3_21rocsparse_index_base_b: ; @_ZN9rocsparseL17coomvt_aos_kernelILj1024EiDF16_DF16_ffEEv20rocsparse_operation_lNS_24const_host_device_scalarIT4_EEPKT0_PKT1_PKT2_PT3_21rocsparse_index_base_b
; %bb.0:
	s_load_dwordx2 s[16:17], s[4:5], 0x38
	s_load_dwordx4 s[0:3], s[4:5], 0x8
	s_waitcnt lgkmcnt(0)
	s_bitcmp1_b32 s17, 0
	s_cselect_b64 s[8:9], -1, 0
	s_and_b64 vcc, exec, s[8:9]
	s_cbranch_vccnz .LBB47_2
; %bb.1:
	s_load_dword s2, s[2:3], 0x0
.LBB47_2:
	s_waitcnt lgkmcnt(0)
	v_cmp_eq_f32_e64 s[8:9], s2, 0
	s_and_b64 vcc, exec, s[8:9]
	s_cbranch_vccnz .LBB47_6
; %bb.3:
	s_load_dword s3, s[4:5], 0x4c
	v_mov_b32_e32 v1, 0
	s_waitcnt lgkmcnt(0)
	s_and_b32 s3, s3, 0xffff
	s_mul_i32 s6, s6, s3
	v_add_u32_e32 v0, s6, v0
	v_cmp_gt_i64_e32 vcc, s[0:1], v[0:1]
	s_and_saveexec_b64 s[0:1], vcc
	s_cbranch_execz .LBB47_6
; %bb.4:
	s_load_dwordx8 s[8:15], s[4:5], 0x18
	v_lshlrev_b64 v[2:3], 3, v[0:1]
	v_lshlrev_b64 v[0:1], 1, v[0:1]
	s_mov_b64 s[0:1], 0
	s_waitcnt lgkmcnt(0)
	v_mov_b32_e32 v4, s9
	v_add_co_u32_e32 v2, vcc, s8, v2
	v_addc_co_u32_e32 v3, vcc, v4, v3, vcc
	global_load_dwordx2 v[2:3], v[2:3], off
	v_mov_b32_e32 v4, s11
	v_add_co_u32_e32 v0, vcc, s10, v0
	v_addc_co_u32_e32 v1, vcc, v4, v1, vcc
	global_load_ushort v4, v[0:1], off
	v_mov_b32_e32 v6, s13
	v_mov_b32_e32 v5, s15
	s_waitcnt vmcnt(1)
	v_subrev_u32_e32 v0, s16, v2
	v_ashrrev_i32_e32 v1, 31, v0
	v_lshlrev_b64 v[0:1], 1, v[0:1]
	v_subrev_u32_e32 v2, s16, v3
	v_add_co_u32_e32 v0, vcc, s12, v0
	v_addc_co_u32_e32 v1, vcc, v6, v1, vcc
	v_ashrrev_i32_e32 v3, 31, v2
	global_load_ushort v6, v[0:1], off
	v_lshlrev_b64 v[0:1], 2, v[2:3]
	s_waitcnt vmcnt(1)
	v_cvt_f32_f16_e32 v2, v4
	v_add_co_u32_e32 v0, vcc, s14, v0
	v_addc_co_u32_e32 v1, vcc, v5, v1, vcc
	global_load_dword v3, v[0:1], off
	v_mul_f32_e32 v2, s2, v2
	s_waitcnt vmcnt(1)
	v_cvt_f32_f16_e32 v4, v6
	v_mul_f32_e32 v4, v2, v4
.LBB47_5:                               ; =>This Inner Loop Header: Depth=1
	s_waitcnt vmcnt(0)
	v_add_f32_e32 v2, v3, v4
	global_atomic_cmpswap v2, v[0:1], v[2:3], off glc
	s_waitcnt vmcnt(0)
	v_cmp_eq_u32_e32 vcc, v2, v3
	s_or_b64 s[0:1], vcc, s[0:1]
	v_mov_b32_e32 v3, v2
	s_andn2_b64 exec, exec, s[0:1]
	s_cbranch_execnz .LBB47_5
.LBB47_6:
	s_endpgm
	.section	.rodata,"a",@progbits
	.p2align	6, 0x0
	.amdhsa_kernel _ZN9rocsparseL17coomvt_aos_kernelILj1024EiDF16_DF16_ffEEv20rocsparse_operation_lNS_24const_host_device_scalarIT4_EEPKT0_PKT1_PKT2_PT3_21rocsparse_index_base_b
		.amdhsa_group_segment_fixed_size 0
		.amdhsa_private_segment_fixed_size 0
		.amdhsa_kernarg_size 320
		.amdhsa_user_sgpr_count 6
		.amdhsa_user_sgpr_private_segment_buffer 1
		.amdhsa_user_sgpr_dispatch_ptr 0
		.amdhsa_user_sgpr_queue_ptr 0
		.amdhsa_user_sgpr_kernarg_segment_ptr 1
		.amdhsa_user_sgpr_dispatch_id 0
		.amdhsa_user_sgpr_flat_scratch_init 0
		.amdhsa_user_sgpr_private_segment_size 0
		.amdhsa_uses_dynamic_stack 0
		.amdhsa_system_sgpr_private_segment_wavefront_offset 0
		.amdhsa_system_sgpr_workgroup_id_x 1
		.amdhsa_system_sgpr_workgroup_id_y 0
		.amdhsa_system_sgpr_workgroup_id_z 0
		.amdhsa_system_sgpr_workgroup_info 0
		.amdhsa_system_vgpr_workitem_id 0
		.amdhsa_next_free_vgpr 7
		.amdhsa_next_free_sgpr 18
		.amdhsa_reserve_vcc 1
		.amdhsa_reserve_flat_scratch 0
		.amdhsa_float_round_mode_32 0
		.amdhsa_float_round_mode_16_64 0
		.amdhsa_float_denorm_mode_32 3
		.amdhsa_float_denorm_mode_16_64 3
		.amdhsa_dx10_clamp 1
		.amdhsa_ieee_mode 1
		.amdhsa_fp16_overflow 0
		.amdhsa_exception_fp_ieee_invalid_op 0
		.amdhsa_exception_fp_denorm_src 0
		.amdhsa_exception_fp_ieee_div_zero 0
		.amdhsa_exception_fp_ieee_overflow 0
		.amdhsa_exception_fp_ieee_underflow 0
		.amdhsa_exception_fp_ieee_inexact 0
		.amdhsa_exception_int_div_zero 0
	.end_amdhsa_kernel
	.section	.text._ZN9rocsparseL17coomvt_aos_kernelILj1024EiDF16_DF16_ffEEv20rocsparse_operation_lNS_24const_host_device_scalarIT4_EEPKT0_PKT1_PKT2_PT3_21rocsparse_index_base_b,"axG",@progbits,_ZN9rocsparseL17coomvt_aos_kernelILj1024EiDF16_DF16_ffEEv20rocsparse_operation_lNS_24const_host_device_scalarIT4_EEPKT0_PKT1_PKT2_PT3_21rocsparse_index_base_b,comdat
.Lfunc_end47:
	.size	_ZN9rocsparseL17coomvt_aos_kernelILj1024EiDF16_DF16_ffEEv20rocsparse_operation_lNS_24const_host_device_scalarIT4_EEPKT0_PKT1_PKT2_PT3_21rocsparse_index_base_b, .Lfunc_end47-_ZN9rocsparseL17coomvt_aos_kernelILj1024EiDF16_DF16_ffEEv20rocsparse_operation_lNS_24const_host_device_scalarIT4_EEPKT0_PKT1_PKT2_PT3_21rocsparse_index_base_b
                                        ; -- End function
	.set _ZN9rocsparseL17coomvt_aos_kernelILj1024EiDF16_DF16_ffEEv20rocsparse_operation_lNS_24const_host_device_scalarIT4_EEPKT0_PKT1_PKT2_PT3_21rocsparse_index_base_b.num_vgpr, 7
	.set _ZN9rocsparseL17coomvt_aos_kernelILj1024EiDF16_DF16_ffEEv20rocsparse_operation_lNS_24const_host_device_scalarIT4_EEPKT0_PKT1_PKT2_PT3_21rocsparse_index_base_b.num_agpr, 0
	.set _ZN9rocsparseL17coomvt_aos_kernelILj1024EiDF16_DF16_ffEEv20rocsparse_operation_lNS_24const_host_device_scalarIT4_EEPKT0_PKT1_PKT2_PT3_21rocsparse_index_base_b.numbered_sgpr, 18
	.set _ZN9rocsparseL17coomvt_aos_kernelILj1024EiDF16_DF16_ffEEv20rocsparse_operation_lNS_24const_host_device_scalarIT4_EEPKT0_PKT1_PKT2_PT3_21rocsparse_index_base_b.num_named_barrier, 0
	.set _ZN9rocsparseL17coomvt_aos_kernelILj1024EiDF16_DF16_ffEEv20rocsparse_operation_lNS_24const_host_device_scalarIT4_EEPKT0_PKT1_PKT2_PT3_21rocsparse_index_base_b.private_seg_size, 0
	.set _ZN9rocsparseL17coomvt_aos_kernelILj1024EiDF16_DF16_ffEEv20rocsparse_operation_lNS_24const_host_device_scalarIT4_EEPKT0_PKT1_PKT2_PT3_21rocsparse_index_base_b.uses_vcc, 1
	.set _ZN9rocsparseL17coomvt_aos_kernelILj1024EiDF16_DF16_ffEEv20rocsparse_operation_lNS_24const_host_device_scalarIT4_EEPKT0_PKT1_PKT2_PT3_21rocsparse_index_base_b.uses_flat_scratch, 0
	.set _ZN9rocsparseL17coomvt_aos_kernelILj1024EiDF16_DF16_ffEEv20rocsparse_operation_lNS_24const_host_device_scalarIT4_EEPKT0_PKT1_PKT2_PT3_21rocsparse_index_base_b.has_dyn_sized_stack, 0
	.set _ZN9rocsparseL17coomvt_aos_kernelILj1024EiDF16_DF16_ffEEv20rocsparse_operation_lNS_24const_host_device_scalarIT4_EEPKT0_PKT1_PKT2_PT3_21rocsparse_index_base_b.has_recursion, 0
	.set _ZN9rocsparseL17coomvt_aos_kernelILj1024EiDF16_DF16_ffEEv20rocsparse_operation_lNS_24const_host_device_scalarIT4_EEPKT0_PKT1_PKT2_PT3_21rocsparse_index_base_b.has_indirect_call, 0
	.section	.AMDGPU.csdata,"",@progbits
; Kernel info:
; codeLenInByte = 324
; TotalNumSgprs: 22
; NumVgprs: 7
; ScratchSize: 0
; MemoryBound: 0
; FloatMode: 240
; IeeeMode: 1
; LDSByteSize: 0 bytes/workgroup (compile time only)
; SGPRBlocks: 2
; VGPRBlocks: 1
; NumSGPRsForWavesPerEU: 22
; NumVGPRsForWavesPerEU: 7
; Occupancy: 10
; WaveLimiterHint : 1
; COMPUTE_PGM_RSRC2:SCRATCH_EN: 0
; COMPUTE_PGM_RSRC2:USER_SGPR: 6
; COMPUTE_PGM_RSRC2:TRAP_HANDLER: 0
; COMPUTE_PGM_RSRC2:TGID_X_EN: 1
; COMPUTE_PGM_RSRC2:TGID_Y_EN: 0
; COMPUTE_PGM_RSRC2:TGID_Z_EN: 0
; COMPUTE_PGM_RSRC2:TIDIG_COMP_CNT: 0
	.section	.text._ZN9rocsparseL26coomvn_aos_segmented_loopsILj256EiDF16_DF16_ffEEvlT0_NS_24const_host_device_scalarIT4_EEPKS1_PKT1_PKT2_PT3_PS1_PS3_21rocsparse_index_base_b,"axG",@progbits,_ZN9rocsparseL26coomvn_aos_segmented_loopsILj256EiDF16_DF16_ffEEvlT0_NS_24const_host_device_scalarIT4_EEPKS1_PKT1_PKT2_PT3_PS1_PS3_21rocsparse_index_base_b,comdat
	.globl	_ZN9rocsparseL26coomvn_aos_segmented_loopsILj256EiDF16_DF16_ffEEvlT0_NS_24const_host_device_scalarIT4_EEPKS1_PKT1_PKT2_PT3_PS1_PS3_21rocsparse_index_base_b ; -- Begin function _ZN9rocsparseL26coomvn_aos_segmented_loopsILj256EiDF16_DF16_ffEEvlT0_NS_24const_host_device_scalarIT4_EEPKS1_PKT1_PKT2_PT3_PS1_PS3_21rocsparse_index_base_b
	.p2align	8
	.type	_ZN9rocsparseL26coomvn_aos_segmented_loopsILj256EiDF16_DF16_ffEEvlT0_NS_24const_host_device_scalarIT4_EEPKS1_PKT1_PKT2_PT3_PS1_PS3_21rocsparse_index_base_b,@function
_ZN9rocsparseL26coomvn_aos_segmented_loopsILj256EiDF16_DF16_ffEEvlT0_NS_24const_host_device_scalarIT4_EEPKS1_PKT1_PKT2_PT3_PS1_PS3_21rocsparse_index_base_b: ; @_ZN9rocsparseL26coomvn_aos_segmented_loopsILj256EiDF16_DF16_ffEEvlT0_NS_24const_host_device_scalarIT4_EEPKS1_PKT1_PKT2_PT3_PS1_PS3_21rocsparse_index_base_b
; %bb.0:
	s_load_dwordx2 s[36:37], s[4:5], 0x48
	s_load_dwordx2 s[34:35], s[4:5], 0x10
	s_waitcnt lgkmcnt(0)
	s_bitcmp1_b32 s37, 0
	s_cselect_b64 s[0:1], -1, 0
	s_and_b64 vcc, exec, s[0:1]
	s_cbranch_vccnz .LBB48_2
; %bb.1:
	s_load_dword s34, s[34:35], 0x0
.LBB48_2:
	s_waitcnt lgkmcnt(0)
	v_cmp_eq_f32_e64 s[0:1], s34, 0
	s_and_b64 vcc, exec, s[0:1]
	s_cbranch_vccnz .LBB48_89
; %bb.3:
	s_load_dword s35, s[4:5], 0x8
	s_load_dwordx2 s[38:39], s[4:5], 0x0
	s_load_dwordx4 s[28:31], s[4:5], 0x18
	s_load_dwordx2 s[42:43], s[4:5], 0x28
	v_mov_b32_e32 v2, 0
	s_waitcnt lgkmcnt(0)
	s_mul_i32 s0, s6, s35
	v_lshl_or_b32 v1, s0, 8, v0
	v_cmp_gt_i64_e32 vcc, s[38:39], v[1:2]
	v_lshlrev_b64 v[5:6], 3, v[1:2]
	v_lshlrev_b64 v[7:8], 1, v[1:2]
	v_mov_b32_e32 v3, -1
	s_and_saveexec_b64 s[0:1], vcc
	s_cbranch_execz .LBB48_5
; %bb.4:
	v_mov_b32_e32 v3, s29
	v_add_co_u32_e32 v2, vcc, s28, v5
	v_addc_co_u32_e32 v3, vcc, v3, v6, vcc
	global_load_dwordx2 v[2:3], v[2:3], off glc slc
	v_mov_b32_e32 v4, s31
	v_add_co_u32_e32 v9, vcc, s30, v7
	v_addc_co_u32_e32 v10, vcc, v4, v8, vcc
	v_mov_b32_e32 v11, s43
	s_ashr_i32 s37, s36, 31
	s_lshl_b64 s[2:3], s[36:37], 1
	global_load_ushort v9, v[9:10], off
	v_mov_b32_e32 v10, s3
	s_waitcnt vmcnt(1)
	v_ashrrev_i32_e32 v4, 31, v3
	v_lshlrev_b64 v[3:4], 1, v[3:4]
	v_add_co_u32_e32 v3, vcc, s42, v3
	v_addc_co_u32_e32 v4, vcc, v11, v4, vcc
	v_subrev_co_u32_e32 v3, vcc, s2, v3
	v_subb_co_u32_e32 v4, vcc, v4, v10, vcc
	global_load_ushort v3, v[3:4], off
	s_waitcnt vmcnt(1)
	v_cvt_f32_f16_e32 v4, v9
	s_waitcnt vmcnt(0)
	v_cvt_f32_f16_e32 v9, v3
	v_subrev_u32_e32 v3, s36, v2
	v_mul_f32_e32 v2, v4, v9
.LBB48_5:
	s_or_b64 exec, exec, s[0:1]
	v_lshlrev_b32_e32 v11, 2, v0
	v_or_b32_e32 v12, 0x400, v11
	v_cmp_eq_u32_e64 s[0:1], 0, v0
	v_cmp_ne_u32_e64 s[2:3], 0, v0
	v_add_u32_e32 v13, -4, v11
	ds_write2st64_b32 v11, v3, v2 offset1:4
	s_waitcnt lgkmcnt(0)
	s_barrier
	s_and_saveexec_b64 s[8:9], s[2:3]
	s_cbranch_execz .LBB48_9
; %bb.6:
	ds_read_b32 v4, v13
	s_waitcnt lgkmcnt(0)
	v_cmp_eq_u32_e32 vcc, v3, v4
	s_and_saveexec_b64 s[10:11], vcc
	s_cbranch_execz .LBB48_8
; %bb.7:
	v_add_u32_e32 v4, -4, v12
	ds_read_b32 v4, v4
	s_waitcnt lgkmcnt(0)
	v_add_f32_e32 v2, v2, v4
.LBB48_8:
	s_or_b64 exec, exec, s[10:11]
.LBB48_9:
	s_or_b64 exec, exec, s[8:9]
	v_cmp_lt_u32_e64 s[22:23], 1, v0
	v_add_u32_e32 v14, -8, v11
	s_barrier
	ds_write_b32 v12, v2
	s_waitcnt lgkmcnt(0)
	s_barrier
	s_and_saveexec_b64 s[8:9], s[22:23]
	s_cbranch_execz .LBB48_13
; %bb.10:
	ds_read_b32 v4, v14
	s_waitcnt lgkmcnt(0)
	v_cmp_eq_u32_e32 vcc, v3, v4
	s_and_saveexec_b64 s[10:11], vcc
	s_cbranch_execz .LBB48_12
; %bb.11:
	v_add_u32_e32 v4, -8, v12
	ds_read_b32 v4, v4
	s_waitcnt lgkmcnt(0)
	v_add_f32_e32 v2, v2, v4
.LBB48_12:
	s_or_b64 exec, exec, s[10:11]
.LBB48_13:
	s_or_b64 exec, exec, s[8:9]
	v_cmp_lt_u32_e64 s[8:9], 3, v0
	v_add_u32_e32 v15, -16, v11
	s_barrier
	ds_write_b32 v12, v2
	s_waitcnt lgkmcnt(0)
	s_barrier
	s_and_saveexec_b64 s[10:11], s[8:9]
	s_cbranch_execz .LBB48_17
; %bb.14:
	ds_read_b32 v4, v15
	s_waitcnt lgkmcnt(0)
	v_cmp_eq_u32_e32 vcc, v3, v4
	s_and_saveexec_b64 s[12:13], vcc
	s_cbranch_execz .LBB48_16
; %bb.15:
	v_add_u32_e32 v4, -16, v12
	ds_read_b32 v4, v4
	s_waitcnt lgkmcnt(0)
	v_add_f32_e32 v2, v2, v4
.LBB48_16:
	s_or_b64 exec, exec, s[12:13]
.LBB48_17:
	s_or_b64 exec, exec, s[10:11]
	v_cmp_lt_u32_e64 s[10:11], 7, v0
	v_subrev_u32_e32 v16, 32, v11
	s_barrier
	ds_write_b32 v12, v2
	s_waitcnt lgkmcnt(0)
	s_barrier
	s_and_saveexec_b64 s[12:13], s[10:11]
	s_cbranch_execz .LBB48_21
; %bb.18:
	ds_read_b32 v4, v16
	s_waitcnt lgkmcnt(0)
	v_cmp_eq_u32_e32 vcc, v3, v4
	s_and_saveexec_b64 s[14:15], vcc
	s_cbranch_execz .LBB48_20
; %bb.19:
	v_subrev_u32_e32 v4, 32, v12
	ds_read_b32 v4, v4
	s_waitcnt lgkmcnt(0)
	v_add_f32_e32 v2, v2, v4
.LBB48_20:
	s_or_b64 exec, exec, s[14:15]
.LBB48_21:
	s_or_b64 exec, exec, s[12:13]
	v_cmp_lt_u32_e64 s[12:13], 15, v0
	v_subrev_u32_e32 v17, 64, v11
	s_barrier
	ds_write_b32 v12, v2
	s_waitcnt lgkmcnt(0)
	s_barrier
	s_and_saveexec_b64 s[14:15], s[12:13]
	s_cbranch_execz .LBB48_25
; %bb.22:
	ds_read_b32 v4, v17
	s_waitcnt lgkmcnt(0)
	v_cmp_eq_u32_e32 vcc, v3, v4
	s_and_saveexec_b64 s[16:17], vcc
	s_cbranch_execz .LBB48_24
; %bb.23:
	v_subrev_u32_e32 v4, 64, v12
	ds_read_b32 v4, v4
	s_waitcnt lgkmcnt(0)
	v_add_f32_e32 v2, v2, v4
.LBB48_24:
	s_or_b64 exec, exec, s[16:17]
.LBB48_25:
	s_or_b64 exec, exec, s[14:15]
	v_cmp_lt_u32_e64 s[14:15], 31, v0
	s_barrier
	ds_write_b32 v12, v2
	s_waitcnt lgkmcnt(0)
	s_barrier
	s_and_saveexec_b64 s[16:17], s[14:15]
	s_cbranch_execz .LBB48_29
; %bb.26:
	v_add_u32_e32 v4, 0xffffff80, v11
	ds_read_b32 v4, v4
	s_waitcnt lgkmcnt(0)
	v_cmp_eq_u32_e32 vcc, v3, v4
	s_and_saveexec_b64 s[18:19], vcc
	s_cbranch_execz .LBB48_28
; %bb.27:
	v_add_u32_e32 v4, 0xffffff80, v12
	ds_read_b32 v4, v4
	s_waitcnt lgkmcnt(0)
	v_add_f32_e32 v2, v2, v4
.LBB48_28:
	s_or_b64 exec, exec, s[18:19]
.LBB48_29:
	s_or_b64 exec, exec, s[16:17]
	v_cmp_lt_u32_e64 s[16:17], 63, v0
	s_barrier
	ds_write_b32 v12, v2
	s_waitcnt lgkmcnt(0)
	s_barrier
	s_and_saveexec_b64 s[18:19], s[16:17]
	s_cbranch_execz .LBB48_33
; %bb.30:
	v_add_u32_e32 v4, 0xffffff00, v11
	ds_read_b32 v4, v4
	s_waitcnt lgkmcnt(0)
	v_cmp_eq_u32_e32 vcc, v3, v4
	s_and_saveexec_b64 s[20:21], vcc
	s_cbranch_execz .LBB48_32
; %bb.31:
	v_add_u32_e32 v4, 0xffffff00, v12
	ds_read_b32 v4, v4
	s_waitcnt lgkmcnt(0)
	v_add_f32_e32 v2, v2, v4
.LBB48_32:
	s_or_b64 exec, exec, s[20:21]
.LBB48_33:
	s_or_b64 exec, exec, s[18:19]
	s_load_dwordx2 s[40:41], s[4:5], 0x30
	s_movk_i32 s7, 0x7f
	v_cmp_lt_u32_e64 s[18:19], s7, v0
	s_waitcnt lgkmcnt(0)
	s_barrier
	ds_write_b32 v12, v2
	s_waitcnt lgkmcnt(0)
	s_barrier
	s_and_saveexec_b64 s[20:21], s[18:19]
	s_cbranch_execz .LBB48_37
; %bb.34:
	v_add_u32_e32 v4, 0xfffffe00, v11
	ds_read_b32 v4, v4
	s_waitcnt lgkmcnt(0)
	v_cmp_eq_u32_e32 vcc, v3, v4
	s_and_saveexec_b64 s[24:25], vcc
	s_cbranch_execz .LBB48_36
; %bb.35:
	v_add_u32_e32 v4, 0xfffffe00, v12
	ds_read_b32 v4, v4
	s_waitcnt lgkmcnt(0)
	v_add_f32_e32 v2, v2, v4
.LBB48_36:
	s_or_b64 exec, exec, s[24:25]
.LBB48_37:
	s_or_b64 exec, exec, s[20:21]
	s_movk_i32 s7, 0xff
	v_cmp_gt_u32_e64 s[20:21], s7, v0
	s_barrier
	ds_write_b32 v12, v2
	s_waitcnt lgkmcnt(0)
	s_barrier
	s_and_saveexec_b64 s[26:27], s[20:21]
	s_cbranch_execz .LBB48_40
; %bb.38:
	ds_read_b32 v4, v11 offset:4
	v_cmp_lt_i32_e64 s[24:25], -1, v3
	s_waitcnt lgkmcnt(0)
	v_cmp_ne_u32_e32 vcc, v3, v4
	s_and_b64 s[24:25], s[24:25], vcc
	s_and_b64 exec, exec, s[24:25]
	s_cbranch_execz .LBB48_40
; %bb.39:
	v_mov_b32_e32 v4, 0
	v_lshlrev_b64 v[9:10], 2, v[3:4]
	v_mov_b32_e32 v4, s41
	v_add_co_u32_e32 v9, vcc, s40, v9
	v_addc_co_u32_e32 v10, vcc, v4, v10, vcc
	global_load_dword v4, v[9:10], off
	s_waitcnt vmcnt(0)
	v_fmac_f32_e32 v4, s34, v2
	global_store_dword v[9:10], v4, off
.LBB48_40:
	s_or_b64 exec, exec, s[26:27]
	s_load_dwordx4 s[24:27], s[4:5], 0x38
	s_cmp_lt_i32 s35, 2
	s_cbranch_scc1 .LBB48_87
; %bb.41:
	v_mov_b32_e32 v2, s31
	v_add_co_u32_e32 v3, vcc, s30, v7
	s_ashr_i32 s37, s36, 31
	v_addc_co_u32_e32 v2, vcc, v2, v8, vcc
	s_lshl_b64 s[4:5], s[36:37], 1
	v_mov_b32_e32 v4, s29
	v_add_co_u32_e32 v7, vcc, s28, v5
	s_sub_u32 s7, s42, s4
	v_addc_co_u32_e32 v4, vcc, v4, v6, vcc
	s_movk_i32 s4, 0x200
	v_add_co_u32_e32 v5, vcc, s4, v3
	v_addc_co_u32_e32 v6, vcc, 0, v2, vcc
	s_movk_i32 s4, 0x800
	v_add_co_u32_e32 v7, vcc, s4, v7
	;; [unrolled: 3-line block ×3, first 2 shown]
	s_subb_u32 s33, s43, s5
	v_add_u32_e32 v18, -8, v12
	v_add_u32_e32 v19, -16, v12
	v_subrev_u32_e32 v20, 32, v12
	v_subrev_u32_e32 v21, 64, v12
	v_add_u32_e32 v22, 0xffffff80, v11
	v_add_u32_e32 v23, 0xffffff80, v12
	;; [unrolled: 1-line block ×6, first 2 shown]
	v_addc_co_u32_e64 v10, s[4:5], 0, 0, vcc
	s_add_i32 s35, s35, -1
	s_mov_b32 s29, 0
	v_mov_b32_e32 v4, 0
	s_branch .LBB48_43
.LBB48_42:                              ;   in Loop: Header=BB48_43 Depth=1
	s_or_b64 exec, exec, s[30:31]
	v_add_co_u32_e32 v5, vcc, 0x200, v5
	v_addc_co_u32_e32 v6, vcc, 0, v6, vcc
	v_add_co_u32_e32 v7, vcc, 0x800, v7
	v_addc_co_u32_e32 v8, vcc, 0, v8, vcc
	v_add_co_u32_e32 v9, vcc, 0x100, v9
	s_add_i32 s35, s35, -1
	s_cmp_eq_u32 s35, 0
	v_addc_co_u32_e32 v10, vcc, 0, v10, vcc
	s_cbranch_scc1 .LBB48_87
.LBB48_43:                              ; =>This Inner Loop Header: Depth=1
	v_cmp_gt_i64_e32 vcc, s[38:39], v[9:10]
	v_mov_b32_e32 v3, -1
	v_mov_b32_e32 v2, 0
	s_and_saveexec_b64 s[4:5], vcc
	s_cbranch_execz .LBB48_45
; %bb.44:                               ;   in Loop: Header=BB48_43 Depth=1
	global_load_dwordx2 v[1:2], v[7:8], off glc slc
	global_load_ushort v28, v[5:6], off
	v_mov_b32_e32 v29, s33
	s_waitcnt vmcnt(1)
	v_ashrrev_i32_e32 v3, 31, v2
	v_lshlrev_b64 v[2:3], 1, v[2:3]
	s_waitcnt vmcnt(0)
	v_cvt_f32_f16_e32 v28, v28
	v_add_co_u32_e32 v2, vcc, s7, v2
	v_addc_co_u32_e32 v3, vcc, v29, v3, vcc
	global_load_ushort v2, v[2:3], off
	v_subrev_u32_e32 v3, s36, v1
	s_waitcnt vmcnt(0)
	v_cvt_f32_f16_e32 v2, v2
	v_mul_f32_e32 v2, v28, v2
.LBB48_45:                              ;   in Loop: Header=BB48_43 Depth=1
	s_or_b64 exec, exec, s[4:5]
	s_and_saveexec_b64 s[4:5], s[0:1]
	s_cbranch_execz .LBB48_52
; %bb.46:                               ;   in Loop: Header=BB48_43 Depth=1
	ds_read_b32 v1, v4 offset:1020
	s_waitcnt lgkmcnt(0)
	v_readfirstlane_b32 s28, v1
	v_cmp_ne_u32_e32 vcc, v3, v1
	s_and_saveexec_b64 s[30:31], vcc
	s_xor_b64 s[30:31], exec, s[30:31]
	s_cbranch_execz .LBB48_49
; %bb.47:                               ;   in Loop: Header=BB48_43 Depth=1
	s_cmp_lt_i32 s28, 0
	s_cbranch_scc1 .LBB48_49
; %bb.48:                               ;   in Loop: Header=BB48_43 Depth=1
	s_lshl_b64 s[42:43], s[28:29], 2
	s_add_u32 s42, s40, s42
	s_addc_u32 s43, s41, s43
	global_load_dword v1, v4, s[42:43]
	ds_read_b32 v28, v4 offset:2044
	s_waitcnt vmcnt(0) lgkmcnt(0)
	v_fmac_f32_e32 v1, s34, v28
	global_store_dword v4, v1, s[42:43]
.LBB48_49:                              ;   in Loop: Header=BB48_43 Depth=1
	s_andn2_saveexec_b64 s[30:31], s[30:31]
	s_cbranch_execz .LBB48_51
; %bb.50:                               ;   in Loop: Header=BB48_43 Depth=1
	ds_read_b32 v1, v4 offset:2044
	s_waitcnt lgkmcnt(0)
	v_add_f32_e32 v2, v2, v1
.LBB48_51:                              ;   in Loop: Header=BB48_43 Depth=1
	s_or_b64 exec, exec, s[30:31]
.LBB48_52:                              ;   in Loop: Header=BB48_43 Depth=1
	s_or_b64 exec, exec, s[4:5]
	s_waitcnt vmcnt(0) lgkmcnt(0)
	s_barrier
	ds_write_b32 v11, v3
	ds_write_b32 v12, v2
	s_waitcnt lgkmcnt(0)
	s_barrier
	s_and_saveexec_b64 s[4:5], s[2:3]
	s_cbranch_execz .LBB48_56
; %bb.53:                               ;   in Loop: Header=BB48_43 Depth=1
	ds_read_b32 v1, v13
	s_waitcnt lgkmcnt(0)
	v_cmp_eq_u32_e32 vcc, v3, v1
	s_and_saveexec_b64 s[30:31], vcc
	s_cbranch_execz .LBB48_55
; %bb.54:                               ;   in Loop: Header=BB48_43 Depth=1
	v_add_u32_e32 v1, -4, v12
	ds_read_b32 v1, v1
	s_waitcnt lgkmcnt(0)
	v_add_f32_e32 v2, v2, v1
.LBB48_55:                              ;   in Loop: Header=BB48_43 Depth=1
	s_or_b64 exec, exec, s[30:31]
.LBB48_56:                              ;   in Loop: Header=BB48_43 Depth=1
	s_or_b64 exec, exec, s[4:5]
	s_barrier
	ds_write_b32 v12, v2
	s_waitcnt lgkmcnt(0)
	s_barrier
	s_and_saveexec_b64 s[4:5], s[22:23]
	s_cbranch_execz .LBB48_60
; %bb.57:                               ;   in Loop: Header=BB48_43 Depth=1
	ds_read_b32 v1, v14
	s_waitcnt lgkmcnt(0)
	v_cmp_eq_u32_e32 vcc, v3, v1
	s_and_saveexec_b64 s[30:31], vcc
	s_cbranch_execz .LBB48_59
; %bb.58:                               ;   in Loop: Header=BB48_43 Depth=1
	ds_read_b32 v1, v18
	s_waitcnt lgkmcnt(0)
	v_add_f32_e32 v2, v2, v1
.LBB48_59:                              ;   in Loop: Header=BB48_43 Depth=1
	s_or_b64 exec, exec, s[30:31]
.LBB48_60:                              ;   in Loop: Header=BB48_43 Depth=1
	s_or_b64 exec, exec, s[4:5]
	s_barrier
	ds_write_b32 v12, v2
	s_waitcnt lgkmcnt(0)
	s_barrier
	s_and_saveexec_b64 s[4:5], s[8:9]
	s_cbranch_execz .LBB48_64
; %bb.61:                               ;   in Loop: Header=BB48_43 Depth=1
	ds_read_b32 v1, v15
	s_waitcnt lgkmcnt(0)
	v_cmp_eq_u32_e32 vcc, v3, v1
	s_and_saveexec_b64 s[30:31], vcc
	s_cbranch_execz .LBB48_63
; %bb.62:                               ;   in Loop: Header=BB48_43 Depth=1
	ds_read_b32 v1, v19
	s_waitcnt lgkmcnt(0)
	v_add_f32_e32 v2, v2, v1
.LBB48_63:                              ;   in Loop: Header=BB48_43 Depth=1
	s_or_b64 exec, exec, s[30:31]
.LBB48_64:                              ;   in Loop: Header=BB48_43 Depth=1
	;; [unrolled: 20-line block ×7, first 2 shown]
	s_or_b64 exec, exec, s[4:5]
	s_barrier
	ds_write_b32 v12, v2
	s_waitcnt lgkmcnt(0)
	s_barrier
	s_and_saveexec_b64 s[30:31], s[20:21]
	s_cbranch_execz .LBB48_42
; %bb.85:                               ;   in Loop: Header=BB48_43 Depth=1
	ds_read_b32 v1, v11 offset:4
	v_cmp_lt_i32_e64 s[4:5], -1, v3
	s_waitcnt lgkmcnt(0)
	v_cmp_ne_u32_e32 vcc, v3, v1
	s_and_b64 s[4:5], s[4:5], vcc
	s_and_b64 exec, exec, s[4:5]
	s_cbranch_execz .LBB48_42
; %bb.86:                               ;   in Loop: Header=BB48_43 Depth=1
	v_lshlrev_b64 v[28:29], 2, v[3:4]
	v_mov_b32_e32 v1, s41
	v_add_co_u32_e32 v28, vcc, s40, v28
	v_addc_co_u32_e32 v29, vcc, v1, v29, vcc
	global_load_dword v1, v[28:29], off
	s_waitcnt vmcnt(0)
	v_fmac_f32_e32 v1, s34, v2
	global_store_dword v[28:29], v1, off
	s_branch .LBB48_42
.LBB48_87:
	s_movk_i32 s0, 0xff
	v_cmp_eq_u32_e32 vcc, s0, v0
	s_and_saveexec_b64 s[0:1], vcc
	s_cbranch_execz .LBB48_89
; %bb.88:
	s_mov_b32 s7, 0
	s_lshl_b64 s[0:1], s[6:7], 2
	s_waitcnt lgkmcnt(0)
	s_add_u32 s2, s24, s0
	s_addc_u32 s3, s25, s1
	v_mov_b32_e32 v0, 0
	s_add_u32 s0, s26, s0
	v_mul_f32_e32 v1, s34, v2
	s_addc_u32 s1, s27, s1
	global_store_dword v0, v3, s[2:3] glc slc
	global_store_dword v0, v1, s[0:1] glc slc
.LBB48_89:
	s_endpgm
	.section	.rodata,"a",@progbits
	.p2align	6, 0x0
	.amdhsa_kernel _ZN9rocsparseL26coomvn_aos_segmented_loopsILj256EiDF16_DF16_ffEEvlT0_NS_24const_host_device_scalarIT4_EEPKS1_PKT1_PKT2_PT3_PS1_PS3_21rocsparse_index_base_b
		.amdhsa_group_segment_fixed_size 2048
		.amdhsa_private_segment_fixed_size 0
		.amdhsa_kernarg_size 80
		.amdhsa_user_sgpr_count 6
		.amdhsa_user_sgpr_private_segment_buffer 1
		.amdhsa_user_sgpr_dispatch_ptr 0
		.amdhsa_user_sgpr_queue_ptr 0
		.amdhsa_user_sgpr_kernarg_segment_ptr 1
		.amdhsa_user_sgpr_dispatch_id 0
		.amdhsa_user_sgpr_flat_scratch_init 0
		.amdhsa_user_sgpr_private_segment_size 0
		.amdhsa_uses_dynamic_stack 0
		.amdhsa_system_sgpr_private_segment_wavefront_offset 0
		.amdhsa_system_sgpr_workgroup_id_x 1
		.amdhsa_system_sgpr_workgroup_id_y 0
		.amdhsa_system_sgpr_workgroup_id_z 0
		.amdhsa_system_sgpr_workgroup_info 0
		.amdhsa_system_vgpr_workitem_id 0
		.amdhsa_next_free_vgpr 30
		.amdhsa_next_free_sgpr 44
		.amdhsa_reserve_vcc 1
		.amdhsa_reserve_flat_scratch 0
		.amdhsa_float_round_mode_32 0
		.amdhsa_float_round_mode_16_64 0
		.amdhsa_float_denorm_mode_32 3
		.amdhsa_float_denorm_mode_16_64 3
		.amdhsa_dx10_clamp 1
		.amdhsa_ieee_mode 1
		.amdhsa_fp16_overflow 0
		.amdhsa_exception_fp_ieee_invalid_op 0
		.amdhsa_exception_fp_denorm_src 0
		.amdhsa_exception_fp_ieee_div_zero 0
		.amdhsa_exception_fp_ieee_overflow 0
		.amdhsa_exception_fp_ieee_underflow 0
		.amdhsa_exception_fp_ieee_inexact 0
		.amdhsa_exception_int_div_zero 0
	.end_amdhsa_kernel
	.section	.text._ZN9rocsparseL26coomvn_aos_segmented_loopsILj256EiDF16_DF16_ffEEvlT0_NS_24const_host_device_scalarIT4_EEPKS1_PKT1_PKT2_PT3_PS1_PS3_21rocsparse_index_base_b,"axG",@progbits,_ZN9rocsparseL26coomvn_aos_segmented_loopsILj256EiDF16_DF16_ffEEvlT0_NS_24const_host_device_scalarIT4_EEPKS1_PKT1_PKT2_PT3_PS1_PS3_21rocsparse_index_base_b,comdat
.Lfunc_end48:
	.size	_ZN9rocsparseL26coomvn_aos_segmented_loopsILj256EiDF16_DF16_ffEEvlT0_NS_24const_host_device_scalarIT4_EEPKS1_PKT1_PKT2_PT3_PS1_PS3_21rocsparse_index_base_b, .Lfunc_end48-_ZN9rocsparseL26coomvn_aos_segmented_loopsILj256EiDF16_DF16_ffEEvlT0_NS_24const_host_device_scalarIT4_EEPKS1_PKT1_PKT2_PT3_PS1_PS3_21rocsparse_index_base_b
                                        ; -- End function
	.set _ZN9rocsparseL26coomvn_aos_segmented_loopsILj256EiDF16_DF16_ffEEvlT0_NS_24const_host_device_scalarIT4_EEPKS1_PKT1_PKT2_PT3_PS1_PS3_21rocsparse_index_base_b.num_vgpr, 30
	.set _ZN9rocsparseL26coomvn_aos_segmented_loopsILj256EiDF16_DF16_ffEEvlT0_NS_24const_host_device_scalarIT4_EEPKS1_PKT1_PKT2_PT3_PS1_PS3_21rocsparse_index_base_b.num_agpr, 0
	.set _ZN9rocsparseL26coomvn_aos_segmented_loopsILj256EiDF16_DF16_ffEEvlT0_NS_24const_host_device_scalarIT4_EEPKS1_PKT1_PKT2_PT3_PS1_PS3_21rocsparse_index_base_b.numbered_sgpr, 44
	.set _ZN9rocsparseL26coomvn_aos_segmented_loopsILj256EiDF16_DF16_ffEEvlT0_NS_24const_host_device_scalarIT4_EEPKS1_PKT1_PKT2_PT3_PS1_PS3_21rocsparse_index_base_b.num_named_barrier, 0
	.set _ZN9rocsparseL26coomvn_aos_segmented_loopsILj256EiDF16_DF16_ffEEvlT0_NS_24const_host_device_scalarIT4_EEPKS1_PKT1_PKT2_PT3_PS1_PS3_21rocsparse_index_base_b.private_seg_size, 0
	.set _ZN9rocsparseL26coomvn_aos_segmented_loopsILj256EiDF16_DF16_ffEEvlT0_NS_24const_host_device_scalarIT4_EEPKS1_PKT1_PKT2_PT3_PS1_PS3_21rocsparse_index_base_b.uses_vcc, 1
	.set _ZN9rocsparseL26coomvn_aos_segmented_loopsILj256EiDF16_DF16_ffEEvlT0_NS_24const_host_device_scalarIT4_EEPKS1_PKT1_PKT2_PT3_PS1_PS3_21rocsparse_index_base_b.uses_flat_scratch, 0
	.set _ZN9rocsparseL26coomvn_aos_segmented_loopsILj256EiDF16_DF16_ffEEvlT0_NS_24const_host_device_scalarIT4_EEPKS1_PKT1_PKT2_PT3_PS1_PS3_21rocsparse_index_base_b.has_dyn_sized_stack, 0
	.set _ZN9rocsparseL26coomvn_aos_segmented_loopsILj256EiDF16_DF16_ffEEvlT0_NS_24const_host_device_scalarIT4_EEPKS1_PKT1_PKT2_PT3_PS1_PS3_21rocsparse_index_base_b.has_recursion, 0
	.set _ZN9rocsparseL26coomvn_aos_segmented_loopsILj256EiDF16_DF16_ffEEvlT0_NS_24const_host_device_scalarIT4_EEPKS1_PKT1_PKT2_PT3_PS1_PS3_21rocsparse_index_base_b.has_indirect_call, 0
	.section	.AMDGPU.csdata,"",@progbits
; Kernel info:
; codeLenInByte = 2452
; TotalNumSgprs: 48
; NumVgprs: 30
; ScratchSize: 0
; MemoryBound: 0
; FloatMode: 240
; IeeeMode: 1
; LDSByteSize: 2048 bytes/workgroup (compile time only)
; SGPRBlocks: 5
; VGPRBlocks: 7
; NumSGPRsForWavesPerEU: 48
; NumVGPRsForWavesPerEU: 30
; Occupancy: 8
; WaveLimiterHint : 1
; COMPUTE_PGM_RSRC2:SCRATCH_EN: 0
; COMPUTE_PGM_RSRC2:USER_SGPR: 6
; COMPUTE_PGM_RSRC2:TRAP_HANDLER: 0
; COMPUTE_PGM_RSRC2:TGID_X_EN: 1
; COMPUTE_PGM_RSRC2:TGID_Y_EN: 0
; COMPUTE_PGM_RSRC2:TGID_Z_EN: 0
; COMPUTE_PGM_RSRC2:TIDIG_COMP_CNT: 0
	.section	.text._ZN9rocsparseL23coomvn_aos_atomic_loopsILj256ELj1ElDF16_DF16_ffEEvlNS_24const_host_device_scalarIT5_EEPKT1_PKT2_PKT3_PT4_21rocsparse_index_base_b,"axG",@progbits,_ZN9rocsparseL23coomvn_aos_atomic_loopsILj256ELj1ElDF16_DF16_ffEEvlNS_24const_host_device_scalarIT5_EEPKT1_PKT2_PKT3_PT4_21rocsparse_index_base_b,comdat
	.globl	_ZN9rocsparseL23coomvn_aos_atomic_loopsILj256ELj1ElDF16_DF16_ffEEvlNS_24const_host_device_scalarIT5_EEPKT1_PKT2_PKT3_PT4_21rocsparse_index_base_b ; -- Begin function _ZN9rocsparseL23coomvn_aos_atomic_loopsILj256ELj1ElDF16_DF16_ffEEvlNS_24const_host_device_scalarIT5_EEPKT1_PKT2_PKT3_PT4_21rocsparse_index_base_b
	.p2align	8
	.type	_ZN9rocsparseL23coomvn_aos_atomic_loopsILj256ELj1ElDF16_DF16_ffEEvlNS_24const_host_device_scalarIT5_EEPKT1_PKT2_PKT3_PT4_21rocsparse_index_base_b,@function
_ZN9rocsparseL23coomvn_aos_atomic_loopsILj256ELj1ElDF16_DF16_ffEEvlNS_24const_host_device_scalarIT5_EEPKT1_PKT2_PKT3_PT4_21rocsparse_index_base_b: ; @_ZN9rocsparseL23coomvn_aos_atomic_loopsILj256ELj1ElDF16_DF16_ffEEvlNS_24const_host_device_scalarIT5_EEPKT1_PKT2_PKT3_PT4_21rocsparse_index_base_b
; %bb.0:
	s_load_dwordx2 s[8:9], s[4:5], 0x30
	s_load_dwordx4 s[0:3], s[4:5], 0x0
	s_waitcnt lgkmcnt(0)
	s_bitcmp1_b32 s9, 0
	s_cselect_b64 s[10:11], -1, 0
	s_and_b64 vcc, exec, s[10:11]
	s_cbranch_vccnz .LBB49_2
; %bb.1:
	s_load_dword s2, s[2:3], 0x0
.LBB49_2:
	s_waitcnt lgkmcnt(0)
	v_cmp_eq_f32_e64 s[10:11], s2, 0
	s_and_b64 vcc, exec, s[10:11]
	s_cbranch_vccnz .LBB49_44
; %bb.3:
	v_lshl_or_b32 v1, s6, 8, v0
	v_mov_b32_e32 v2, 0
	v_cmp_gt_i64_e32 vcc, s[0:1], v[1:2]
	v_mov_b32_e32 v3, -1
	v_mov_b32_e32 v4, -1
	s_and_saveexec_b64 s[0:1], vcc
	s_cbranch_execz .LBB49_5
; %bb.4:
	s_load_dwordx4 s[12:15], s[4:5], 0x10
	s_load_dwordx2 s[6:7], s[4:5], 0x20
	v_lshlrev_b64 v[3:4], 4, v[1:2]
	v_lshlrev_b64 v[1:2], 1, v[1:2]
	s_waitcnt lgkmcnt(0)
	v_mov_b32_e32 v5, s13
	v_add_co_u32_e32 v3, vcc, s12, v3
	v_addc_co_u32_e32 v4, vcc, v5, v4, vcc
	global_load_dwordx4 v[3:6], v[3:4], off glc slc
	v_mov_b32_e32 v7, s15
	v_add_co_u32_e32 v1, vcc, s14, v1
	v_addc_co_u32_e32 v2, vcc, v7, v2, vcc
	global_load_ushort v7, v[1:2], off
	v_mov_b32_e32 v8, s7
	s_waitcnt vmcnt(1)
	v_subrev_co_u32_e32 v1, vcc, s8, v5
	v_subbrev_co_u32_e32 v2, vcc, 0, v6, vcc
	v_lshlrev_b64 v[1:2], 1, v[1:2]
	v_add_co_u32_e32 v1, vcc, s6, v1
	v_addc_co_u32_e32 v2, vcc, v8, v2, vcc
	global_load_ushort v1, v[1:2], off
	s_waitcnt vmcnt(1)
	v_cvt_f32_f16_e32 v2, v7
	v_subrev_co_u32_e32 v3, vcc, s8, v3
	v_subbrev_co_u32_e32 v4, vcc, 0, v4, vcc
	s_waitcnt vmcnt(0)
	v_cvt_f32_f16_e32 v1, v1
	v_mul_f32_e32 v2, v2, v1
.LBB49_5:
	s_or_b64 exec, exec, s[0:1]
	v_lshlrev_b32_e32 v6, 2, v0
	v_lshlrev_b32_e32 v1, 3, v0
	v_or_b32_e32 v5, 0x800, v6
	v_cmp_ne_u32_e32 vcc, 0, v0
	ds_write_b64 v1, v[3:4]
	ds_write_b32 v6, v2 offset:2048
	s_waitcnt lgkmcnt(0)
	s_barrier
	s_and_saveexec_b64 s[0:1], vcc
	s_cbranch_execz .LBB49_9
; %bb.6:
	v_add_u32_e32 v6, -8, v1
	ds_read_b64 v[6:7], v6
	s_waitcnt lgkmcnt(0)
	v_cmp_eq_u64_e32 vcc, v[3:4], v[6:7]
	s_and_saveexec_b64 s[6:7], vcc
	s_cbranch_execz .LBB49_8
; %bb.7:
	v_add_u32_e32 v6, -4, v5
	ds_read_b32 v6, v6
	s_waitcnt lgkmcnt(0)
	v_add_f32_e32 v2, v2, v6
.LBB49_8:
	s_or_b64 exec, exec, s[6:7]
.LBB49_9:
	s_or_b64 exec, exec, s[0:1]
	v_cmp_lt_u32_e32 vcc, 1, v0
	s_barrier
	ds_write_b32 v5, v2
	s_waitcnt lgkmcnt(0)
	s_barrier
	s_and_saveexec_b64 s[0:1], vcc
	s_cbranch_execz .LBB49_13
; %bb.10:
	v_add_u32_e32 v6, -16, v1
	ds_read_b64 v[6:7], v6
	s_waitcnt lgkmcnt(0)
	v_cmp_eq_u64_e32 vcc, v[3:4], v[6:7]
	s_and_saveexec_b64 s[6:7], vcc
	s_cbranch_execz .LBB49_12
; %bb.11:
	v_add_u32_e32 v6, -8, v5
	ds_read_b32 v6, v6
	s_waitcnt lgkmcnt(0)
	v_add_f32_e32 v2, v2, v6
.LBB49_12:
	s_or_b64 exec, exec, s[6:7]
.LBB49_13:
	s_or_b64 exec, exec, s[0:1]
	v_cmp_lt_u32_e32 vcc, 3, v0
	s_barrier
	ds_write_b32 v5, v2
	s_waitcnt lgkmcnt(0)
	s_barrier
	s_and_saveexec_b64 s[0:1], vcc
	s_cbranch_execz .LBB49_17
; %bb.14:
	v_subrev_u32_e32 v6, 32, v1
	ds_read_b64 v[6:7], v6
	s_waitcnt lgkmcnt(0)
	v_cmp_eq_u64_e32 vcc, v[3:4], v[6:7]
	s_and_saveexec_b64 s[6:7], vcc
	s_cbranch_execz .LBB49_16
; %bb.15:
	v_add_u32_e32 v6, -16, v5
	ds_read_b32 v6, v6
	s_waitcnt lgkmcnt(0)
	v_add_f32_e32 v2, v2, v6
.LBB49_16:
	s_or_b64 exec, exec, s[6:7]
.LBB49_17:
	s_or_b64 exec, exec, s[0:1]
	v_cmp_lt_u32_e32 vcc, 7, v0
	s_barrier
	ds_write_b32 v5, v2
	s_waitcnt lgkmcnt(0)
	s_barrier
	s_and_saveexec_b64 s[0:1], vcc
	s_cbranch_execz .LBB49_21
; %bb.18:
	v_subrev_u32_e32 v6, 64, v1
	ds_read_b64 v[6:7], v6
	s_waitcnt lgkmcnt(0)
	v_cmp_eq_u64_e32 vcc, v[3:4], v[6:7]
	s_and_saveexec_b64 s[6:7], vcc
	s_cbranch_execz .LBB49_20
; %bb.19:
	v_subrev_u32_e32 v6, 32, v5
	ds_read_b32 v6, v6
	s_waitcnt lgkmcnt(0)
	v_add_f32_e32 v2, v2, v6
.LBB49_20:
	s_or_b64 exec, exec, s[6:7]
.LBB49_21:
	s_or_b64 exec, exec, s[0:1]
	v_cmp_lt_u32_e32 vcc, 15, v0
	s_barrier
	ds_write_b32 v5, v2
	s_waitcnt lgkmcnt(0)
	s_barrier
	s_and_saveexec_b64 s[0:1], vcc
	s_cbranch_execz .LBB49_25
; %bb.22:
	v_add_u32_e32 v6, 0xffffff80, v1
	ds_read_b64 v[6:7], v6
	s_waitcnt lgkmcnt(0)
	v_cmp_eq_u64_e32 vcc, v[3:4], v[6:7]
	s_and_saveexec_b64 s[6:7], vcc
	s_cbranch_execz .LBB49_24
; %bb.23:
	v_subrev_u32_e32 v6, 64, v5
	ds_read_b32 v6, v6
	s_waitcnt lgkmcnt(0)
	v_add_f32_e32 v2, v2, v6
.LBB49_24:
	s_or_b64 exec, exec, s[6:7]
.LBB49_25:
	s_or_b64 exec, exec, s[0:1]
	v_cmp_lt_u32_e32 vcc, 31, v0
	s_barrier
	ds_write_b32 v5, v2
	s_waitcnt lgkmcnt(0)
	s_barrier
	s_and_saveexec_b64 s[0:1], vcc
	s_cbranch_execz .LBB49_29
; %bb.26:
	v_add_u32_e32 v6, 0xffffff00, v1
	ds_read_b64 v[6:7], v6
	s_waitcnt lgkmcnt(0)
	v_cmp_eq_u64_e32 vcc, v[3:4], v[6:7]
	s_and_saveexec_b64 s[6:7], vcc
	s_cbranch_execz .LBB49_28
; %bb.27:
	v_add_u32_e32 v6, 0xffffff80, v5
	ds_read_b32 v6, v6
	s_waitcnt lgkmcnt(0)
	v_add_f32_e32 v2, v2, v6
.LBB49_28:
	s_or_b64 exec, exec, s[6:7]
.LBB49_29:
	s_or_b64 exec, exec, s[0:1]
	v_cmp_lt_u32_e32 vcc, 63, v0
	s_barrier
	ds_write_b32 v5, v2
	s_waitcnt lgkmcnt(0)
	s_barrier
	s_and_saveexec_b64 s[0:1], vcc
	s_cbranch_execz .LBB49_33
; %bb.30:
	v_add_u32_e32 v6, 0xfffffe00, v1
	ds_read_b64 v[6:7], v6
	s_waitcnt lgkmcnt(0)
	v_cmp_eq_u64_e32 vcc, v[3:4], v[6:7]
	s_and_saveexec_b64 s[6:7], vcc
	s_cbranch_execz .LBB49_32
; %bb.31:
	v_add_u32_e32 v6, 0xffffff00, v5
	ds_read_b32 v6, v6
	s_waitcnt lgkmcnt(0)
	v_add_f32_e32 v2, v2, v6
.LBB49_32:
	s_or_b64 exec, exec, s[6:7]
.LBB49_33:
	s_or_b64 exec, exec, s[0:1]
	s_load_dwordx2 s[4:5], s[4:5], 0x28
	s_movk_i32 s0, 0x7f
	v_cmp_lt_u32_e32 vcc, s0, v0
	s_waitcnt lgkmcnt(0)
	s_barrier
	ds_write_b32 v5, v2
	s_waitcnt lgkmcnt(0)
	s_barrier
	s_and_saveexec_b64 s[0:1], vcc
	s_cbranch_execz .LBB49_37
; %bb.34:
	v_add_u32_e32 v6, 0xfffffc00, v1
	ds_read_b64 v[6:7], v6
	s_waitcnt lgkmcnt(0)
	v_cmp_eq_u64_e32 vcc, v[3:4], v[6:7]
	s_and_saveexec_b64 s[6:7], vcc
	s_cbranch_execz .LBB49_36
; %bb.35:
	v_add_u32_e32 v6, 0xfffffe00, v5
	ds_read_b32 v6, v6
	s_waitcnt lgkmcnt(0)
	v_add_f32_e32 v2, v2, v6
.LBB49_36:
	s_or_b64 exec, exec, s[6:7]
.LBB49_37:
	s_or_b64 exec, exec, s[0:1]
	s_movk_i32 s3, 0xff
	v_cmp_gt_u32_e32 vcc, s3, v0
	s_barrier
	ds_write_b32 v5, v2
	s_waitcnt lgkmcnt(0)
	s_barrier
	s_and_saveexec_b64 s[6:7], vcc
	s_cbranch_execz .LBB49_41
; %bb.38:
	ds_read_b64 v[5:6], v1 offset:8
	v_cmp_lt_i64_e64 s[0:1], -1, v[3:4]
	s_waitcnt lgkmcnt(0)
	v_cmp_ne_u64_e32 vcc, v[3:4], v[5:6]
	s_and_b64 s[0:1], s[0:1], vcc
	s_and_b64 exec, exec, s[0:1]
	s_cbranch_execz .LBB49_41
; %bb.39:
	v_lshlrev_b64 v[5:6], 2, v[3:4]
	v_mov_b32_e32 v1, s5
	v_add_co_u32_e32 v5, vcc, s4, v5
	v_addc_co_u32_e32 v6, vcc, v1, v6, vcc
	global_load_dword v8, v[5:6], off
	v_mul_f32_e32 v1, s2, v2
	s_mov_b64 s[0:1], 0
.LBB49_40:                              ; =>This Inner Loop Header: Depth=1
	s_waitcnt vmcnt(0)
	v_add_f32_e32 v7, v8, v1
	global_atomic_cmpswap v7, v[5:6], v[7:8], off glc
	s_waitcnt vmcnt(0)
	v_cmp_eq_u32_e32 vcc, v7, v8
	s_or_b64 s[0:1], vcc, s[0:1]
	v_mov_b32_e32 v8, v7
	s_andn2_b64 exec, exec, s[0:1]
	s_cbranch_execnz .LBB49_40
.LBB49_41:
	s_or_b64 exec, exec, s[6:7]
	v_cmp_lt_i64_e32 vcc, -1, v[3:4]
	v_cmp_eq_u32_e64 s[0:1], s3, v0
	s_and_b64 s[0:1], s[0:1], vcc
	s_and_saveexec_b64 s[6:7], s[0:1]
	s_cbranch_execz .LBB49_44
; %bb.42:
	v_lshlrev_b64 v[0:1], 2, v[3:4]
	v_mov_b32_e32 v3, s5
	v_add_co_u32_e32 v0, vcc, s4, v0
	v_addc_co_u32_e32 v1, vcc, v3, v1, vcc
	global_load_dword v3, v[0:1], off
	v_mul_f32_e32 v4, s2, v2
	s_mov_b64 s[0:1], 0
.LBB49_43:                              ; =>This Inner Loop Header: Depth=1
	s_waitcnt vmcnt(0)
	v_add_f32_e32 v2, v3, v4
	global_atomic_cmpswap v2, v[0:1], v[2:3], off glc
	s_waitcnt vmcnt(0)
	v_cmp_eq_u32_e32 vcc, v2, v3
	s_or_b64 s[0:1], vcc, s[0:1]
	v_mov_b32_e32 v3, v2
	s_andn2_b64 exec, exec, s[0:1]
	s_cbranch_execnz .LBB49_43
.LBB49_44:
	s_endpgm
	.section	.rodata,"a",@progbits
	.p2align	6, 0x0
	.amdhsa_kernel _ZN9rocsparseL23coomvn_aos_atomic_loopsILj256ELj1ElDF16_DF16_ffEEvlNS_24const_host_device_scalarIT5_EEPKT1_PKT2_PKT3_PT4_21rocsparse_index_base_b
		.amdhsa_group_segment_fixed_size 3072
		.amdhsa_private_segment_fixed_size 0
		.amdhsa_kernarg_size 56
		.amdhsa_user_sgpr_count 6
		.amdhsa_user_sgpr_private_segment_buffer 1
		.amdhsa_user_sgpr_dispatch_ptr 0
		.amdhsa_user_sgpr_queue_ptr 0
		.amdhsa_user_sgpr_kernarg_segment_ptr 1
		.amdhsa_user_sgpr_dispatch_id 0
		.amdhsa_user_sgpr_flat_scratch_init 0
		.amdhsa_user_sgpr_private_segment_size 0
		.amdhsa_uses_dynamic_stack 0
		.amdhsa_system_sgpr_private_segment_wavefront_offset 0
		.amdhsa_system_sgpr_workgroup_id_x 1
		.amdhsa_system_sgpr_workgroup_id_y 0
		.amdhsa_system_sgpr_workgroup_id_z 0
		.amdhsa_system_sgpr_workgroup_info 0
		.amdhsa_system_vgpr_workitem_id 0
		.amdhsa_next_free_vgpr 9
		.amdhsa_next_free_sgpr 16
		.amdhsa_reserve_vcc 1
		.amdhsa_reserve_flat_scratch 0
		.amdhsa_float_round_mode_32 0
		.amdhsa_float_round_mode_16_64 0
		.amdhsa_float_denorm_mode_32 3
		.amdhsa_float_denorm_mode_16_64 3
		.amdhsa_dx10_clamp 1
		.amdhsa_ieee_mode 1
		.amdhsa_fp16_overflow 0
		.amdhsa_exception_fp_ieee_invalid_op 0
		.amdhsa_exception_fp_denorm_src 0
		.amdhsa_exception_fp_ieee_div_zero 0
		.amdhsa_exception_fp_ieee_overflow 0
		.amdhsa_exception_fp_ieee_underflow 0
		.amdhsa_exception_fp_ieee_inexact 0
		.amdhsa_exception_int_div_zero 0
	.end_amdhsa_kernel
	.section	.text._ZN9rocsparseL23coomvn_aos_atomic_loopsILj256ELj1ElDF16_DF16_ffEEvlNS_24const_host_device_scalarIT5_EEPKT1_PKT2_PKT3_PT4_21rocsparse_index_base_b,"axG",@progbits,_ZN9rocsparseL23coomvn_aos_atomic_loopsILj256ELj1ElDF16_DF16_ffEEvlNS_24const_host_device_scalarIT5_EEPKT1_PKT2_PKT3_PT4_21rocsparse_index_base_b,comdat
.Lfunc_end49:
	.size	_ZN9rocsparseL23coomvn_aos_atomic_loopsILj256ELj1ElDF16_DF16_ffEEvlNS_24const_host_device_scalarIT5_EEPKT1_PKT2_PKT3_PT4_21rocsparse_index_base_b, .Lfunc_end49-_ZN9rocsparseL23coomvn_aos_atomic_loopsILj256ELj1ElDF16_DF16_ffEEvlNS_24const_host_device_scalarIT5_EEPKT1_PKT2_PKT3_PT4_21rocsparse_index_base_b
                                        ; -- End function
	.set _ZN9rocsparseL23coomvn_aos_atomic_loopsILj256ELj1ElDF16_DF16_ffEEvlNS_24const_host_device_scalarIT5_EEPKT1_PKT2_PKT3_PT4_21rocsparse_index_base_b.num_vgpr, 9
	.set _ZN9rocsparseL23coomvn_aos_atomic_loopsILj256ELj1ElDF16_DF16_ffEEvlNS_24const_host_device_scalarIT5_EEPKT1_PKT2_PKT3_PT4_21rocsparse_index_base_b.num_agpr, 0
	.set _ZN9rocsparseL23coomvn_aos_atomic_loopsILj256ELj1ElDF16_DF16_ffEEvlNS_24const_host_device_scalarIT5_EEPKT1_PKT2_PKT3_PT4_21rocsparse_index_base_b.numbered_sgpr, 16
	.set _ZN9rocsparseL23coomvn_aos_atomic_loopsILj256ELj1ElDF16_DF16_ffEEvlNS_24const_host_device_scalarIT5_EEPKT1_PKT2_PKT3_PT4_21rocsparse_index_base_b.num_named_barrier, 0
	.set _ZN9rocsparseL23coomvn_aos_atomic_loopsILj256ELj1ElDF16_DF16_ffEEvlNS_24const_host_device_scalarIT5_EEPKT1_PKT2_PKT3_PT4_21rocsparse_index_base_b.private_seg_size, 0
	.set _ZN9rocsparseL23coomvn_aos_atomic_loopsILj256ELj1ElDF16_DF16_ffEEvlNS_24const_host_device_scalarIT5_EEPKT1_PKT2_PKT3_PT4_21rocsparse_index_base_b.uses_vcc, 1
	.set _ZN9rocsparseL23coomvn_aos_atomic_loopsILj256ELj1ElDF16_DF16_ffEEvlNS_24const_host_device_scalarIT5_EEPKT1_PKT2_PKT3_PT4_21rocsparse_index_base_b.uses_flat_scratch, 0
	.set _ZN9rocsparseL23coomvn_aos_atomic_loopsILj256ELj1ElDF16_DF16_ffEEvlNS_24const_host_device_scalarIT5_EEPKT1_PKT2_PKT3_PT4_21rocsparse_index_base_b.has_dyn_sized_stack, 0
	.set _ZN9rocsparseL23coomvn_aos_atomic_loopsILj256ELj1ElDF16_DF16_ffEEvlNS_24const_host_device_scalarIT5_EEPKT1_PKT2_PKT3_PT4_21rocsparse_index_base_b.has_recursion, 0
	.set _ZN9rocsparseL23coomvn_aos_atomic_loopsILj256ELj1ElDF16_DF16_ffEEvlNS_24const_host_device_scalarIT5_EEPKT1_PKT2_PKT3_PT4_21rocsparse_index_base_b.has_indirect_call, 0
	.section	.AMDGPU.csdata,"",@progbits
; Kernel info:
; codeLenInByte = 1268
; TotalNumSgprs: 20
; NumVgprs: 9
; ScratchSize: 0
; MemoryBound: 0
; FloatMode: 240
; IeeeMode: 1
; LDSByteSize: 3072 bytes/workgroup (compile time only)
; SGPRBlocks: 2
; VGPRBlocks: 2
; NumSGPRsForWavesPerEU: 20
; NumVGPRsForWavesPerEU: 9
; Occupancy: 10
; WaveLimiterHint : 1
; COMPUTE_PGM_RSRC2:SCRATCH_EN: 0
; COMPUTE_PGM_RSRC2:USER_SGPR: 6
; COMPUTE_PGM_RSRC2:TRAP_HANDLER: 0
; COMPUTE_PGM_RSRC2:TGID_X_EN: 1
; COMPUTE_PGM_RSRC2:TGID_Y_EN: 0
; COMPUTE_PGM_RSRC2:TGID_Z_EN: 0
; COMPUTE_PGM_RSRC2:TIDIG_COMP_CNT: 0
	.section	.text._ZN9rocsparseL17coomvt_aos_kernelILj1024ElDF16_DF16_ffEEv20rocsparse_operation_lNS_24const_host_device_scalarIT4_EEPKT0_PKT1_PKT2_PT3_21rocsparse_index_base_b,"axG",@progbits,_ZN9rocsparseL17coomvt_aos_kernelILj1024ElDF16_DF16_ffEEv20rocsparse_operation_lNS_24const_host_device_scalarIT4_EEPKT0_PKT1_PKT2_PT3_21rocsparse_index_base_b,comdat
	.globl	_ZN9rocsparseL17coomvt_aos_kernelILj1024ElDF16_DF16_ffEEv20rocsparse_operation_lNS_24const_host_device_scalarIT4_EEPKT0_PKT1_PKT2_PT3_21rocsparse_index_base_b ; -- Begin function _ZN9rocsparseL17coomvt_aos_kernelILj1024ElDF16_DF16_ffEEv20rocsparse_operation_lNS_24const_host_device_scalarIT4_EEPKT0_PKT1_PKT2_PT3_21rocsparse_index_base_b
	.p2align	8
	.type	_ZN9rocsparseL17coomvt_aos_kernelILj1024ElDF16_DF16_ffEEv20rocsparse_operation_lNS_24const_host_device_scalarIT4_EEPKT0_PKT1_PKT2_PT3_21rocsparse_index_base_b,@function
_ZN9rocsparseL17coomvt_aos_kernelILj1024ElDF16_DF16_ffEEv20rocsparse_operation_lNS_24const_host_device_scalarIT4_EEPKT0_PKT1_PKT2_PT3_21rocsparse_index_base_b: ; @_ZN9rocsparseL17coomvt_aos_kernelILj1024ElDF16_DF16_ffEEv20rocsparse_operation_lNS_24const_host_device_scalarIT4_EEPKT0_PKT1_PKT2_PT3_21rocsparse_index_base_b
; %bb.0:
	s_load_dwordx2 s[16:17], s[4:5], 0x38
	s_load_dwordx4 s[0:3], s[4:5], 0x8
	s_waitcnt lgkmcnt(0)
	s_bitcmp1_b32 s17, 0
	s_cselect_b64 s[8:9], -1, 0
	s_and_b64 vcc, exec, s[8:9]
	s_cbranch_vccnz .LBB50_2
; %bb.1:
	s_load_dword s2, s[2:3], 0x0
.LBB50_2:
	s_waitcnt lgkmcnt(0)
	v_cmp_eq_f32_e64 s[8:9], s2, 0
	s_and_b64 vcc, exec, s[8:9]
	s_cbranch_vccnz .LBB50_6
; %bb.3:
	s_load_dword s3, s[4:5], 0x4c
	v_mov_b32_e32 v1, 0
	s_waitcnt lgkmcnt(0)
	s_and_b32 s3, s3, 0xffff
	s_mul_i32 s6, s6, s3
	v_add_u32_e32 v0, s6, v0
	v_cmp_gt_i64_e32 vcc, s[0:1], v[0:1]
	s_and_saveexec_b64 s[0:1], vcc
	s_cbranch_execz .LBB50_6
; %bb.4:
	s_load_dwordx8 s[8:15], s[4:5], 0x18
	v_lshlrev_b64 v[2:3], 4, v[0:1]
	v_lshlrev_b64 v[0:1], 1, v[0:1]
	s_mov_b64 s[0:1], 0
	s_waitcnt lgkmcnt(0)
	v_mov_b32_e32 v4, s9
	v_add_co_u32_e32 v2, vcc, s8, v2
	v_addc_co_u32_e32 v3, vcc, v4, v3, vcc
	global_load_dwordx4 v[2:5], v[2:3], off
	v_mov_b32_e32 v6, s11
	v_add_co_u32_e32 v0, vcc, s10, v0
	v_addc_co_u32_e32 v1, vcc, v6, v1, vcc
	global_load_ushort v6, v[0:1], off
	v_mov_b32_e32 v8, s13
	v_mov_b32_e32 v7, s15
	s_waitcnt vmcnt(1)
	v_subrev_co_u32_e32 v0, vcc, s16, v2
	v_subbrev_co_u32_e32 v1, vcc, 0, v3, vcc
	v_subrev_co_u32_e32 v2, vcc, s16, v4
	v_lshlrev_b64 v[0:1], 1, v[0:1]
	v_subbrev_co_u32_e32 v3, vcc, 0, v5, vcc
	v_add_co_u32_e32 v0, vcc, s12, v0
	v_addc_co_u32_e32 v1, vcc, v8, v1, vcc
	global_load_ushort v4, v[0:1], off
	v_lshlrev_b64 v[0:1], 2, v[2:3]
	s_waitcnt vmcnt(1)
	v_cvt_f32_f16_e32 v2, v6
	v_add_co_u32_e32 v0, vcc, s14, v0
	v_addc_co_u32_e32 v1, vcc, v7, v1, vcc
	global_load_dword v3, v[0:1], off
	v_mul_f32_e32 v2, s2, v2
	s_waitcnt vmcnt(1)
	v_cvt_f32_f16_e32 v4, v4
	v_mul_f32_e32 v4, v2, v4
.LBB50_5:                               ; =>This Inner Loop Header: Depth=1
	s_waitcnt vmcnt(0)
	v_add_f32_e32 v2, v3, v4
	global_atomic_cmpswap v2, v[0:1], v[2:3], off glc
	s_waitcnt vmcnt(0)
	v_cmp_eq_u32_e32 vcc, v2, v3
	s_or_b64 s[0:1], vcc, s[0:1]
	v_mov_b32_e32 v3, v2
	s_andn2_b64 exec, exec, s[0:1]
	s_cbranch_execnz .LBB50_5
.LBB50_6:
	s_endpgm
	.section	.rodata,"a",@progbits
	.p2align	6, 0x0
	.amdhsa_kernel _ZN9rocsparseL17coomvt_aos_kernelILj1024ElDF16_DF16_ffEEv20rocsparse_operation_lNS_24const_host_device_scalarIT4_EEPKT0_PKT1_PKT2_PT3_21rocsparse_index_base_b
		.amdhsa_group_segment_fixed_size 0
		.amdhsa_private_segment_fixed_size 0
		.amdhsa_kernarg_size 320
		.amdhsa_user_sgpr_count 6
		.amdhsa_user_sgpr_private_segment_buffer 1
		.amdhsa_user_sgpr_dispatch_ptr 0
		.amdhsa_user_sgpr_queue_ptr 0
		.amdhsa_user_sgpr_kernarg_segment_ptr 1
		.amdhsa_user_sgpr_dispatch_id 0
		.amdhsa_user_sgpr_flat_scratch_init 0
		.amdhsa_user_sgpr_private_segment_size 0
		.amdhsa_uses_dynamic_stack 0
		.amdhsa_system_sgpr_private_segment_wavefront_offset 0
		.amdhsa_system_sgpr_workgroup_id_x 1
		.amdhsa_system_sgpr_workgroup_id_y 0
		.amdhsa_system_sgpr_workgroup_id_z 0
		.amdhsa_system_sgpr_workgroup_info 0
		.amdhsa_system_vgpr_workitem_id 0
		.amdhsa_next_free_vgpr 9
		.amdhsa_next_free_sgpr 18
		.amdhsa_reserve_vcc 1
		.amdhsa_reserve_flat_scratch 0
		.amdhsa_float_round_mode_32 0
		.amdhsa_float_round_mode_16_64 0
		.amdhsa_float_denorm_mode_32 3
		.amdhsa_float_denorm_mode_16_64 3
		.amdhsa_dx10_clamp 1
		.amdhsa_ieee_mode 1
		.amdhsa_fp16_overflow 0
		.amdhsa_exception_fp_ieee_invalid_op 0
		.amdhsa_exception_fp_denorm_src 0
		.amdhsa_exception_fp_ieee_div_zero 0
		.amdhsa_exception_fp_ieee_overflow 0
		.amdhsa_exception_fp_ieee_underflow 0
		.amdhsa_exception_fp_ieee_inexact 0
		.amdhsa_exception_int_div_zero 0
	.end_amdhsa_kernel
	.section	.text._ZN9rocsparseL17coomvt_aos_kernelILj1024ElDF16_DF16_ffEEv20rocsparse_operation_lNS_24const_host_device_scalarIT4_EEPKT0_PKT1_PKT2_PT3_21rocsparse_index_base_b,"axG",@progbits,_ZN9rocsparseL17coomvt_aos_kernelILj1024ElDF16_DF16_ffEEv20rocsparse_operation_lNS_24const_host_device_scalarIT4_EEPKT0_PKT1_PKT2_PT3_21rocsparse_index_base_b,comdat
.Lfunc_end50:
	.size	_ZN9rocsparseL17coomvt_aos_kernelILj1024ElDF16_DF16_ffEEv20rocsparse_operation_lNS_24const_host_device_scalarIT4_EEPKT0_PKT1_PKT2_PT3_21rocsparse_index_base_b, .Lfunc_end50-_ZN9rocsparseL17coomvt_aos_kernelILj1024ElDF16_DF16_ffEEv20rocsparse_operation_lNS_24const_host_device_scalarIT4_EEPKT0_PKT1_PKT2_PT3_21rocsparse_index_base_b
                                        ; -- End function
	.set _ZN9rocsparseL17coomvt_aos_kernelILj1024ElDF16_DF16_ffEEv20rocsparse_operation_lNS_24const_host_device_scalarIT4_EEPKT0_PKT1_PKT2_PT3_21rocsparse_index_base_b.num_vgpr, 9
	.set _ZN9rocsparseL17coomvt_aos_kernelILj1024ElDF16_DF16_ffEEv20rocsparse_operation_lNS_24const_host_device_scalarIT4_EEPKT0_PKT1_PKT2_PT3_21rocsparse_index_base_b.num_agpr, 0
	.set _ZN9rocsparseL17coomvt_aos_kernelILj1024ElDF16_DF16_ffEEv20rocsparse_operation_lNS_24const_host_device_scalarIT4_EEPKT0_PKT1_PKT2_PT3_21rocsparse_index_base_b.numbered_sgpr, 18
	.set _ZN9rocsparseL17coomvt_aos_kernelILj1024ElDF16_DF16_ffEEv20rocsparse_operation_lNS_24const_host_device_scalarIT4_EEPKT0_PKT1_PKT2_PT3_21rocsparse_index_base_b.num_named_barrier, 0
	.set _ZN9rocsparseL17coomvt_aos_kernelILj1024ElDF16_DF16_ffEEv20rocsparse_operation_lNS_24const_host_device_scalarIT4_EEPKT0_PKT1_PKT2_PT3_21rocsparse_index_base_b.private_seg_size, 0
	.set _ZN9rocsparseL17coomvt_aos_kernelILj1024ElDF16_DF16_ffEEv20rocsparse_operation_lNS_24const_host_device_scalarIT4_EEPKT0_PKT1_PKT2_PT3_21rocsparse_index_base_b.uses_vcc, 1
	.set _ZN9rocsparseL17coomvt_aos_kernelILj1024ElDF16_DF16_ffEEv20rocsparse_operation_lNS_24const_host_device_scalarIT4_EEPKT0_PKT1_PKT2_PT3_21rocsparse_index_base_b.uses_flat_scratch, 0
	.set _ZN9rocsparseL17coomvt_aos_kernelILj1024ElDF16_DF16_ffEEv20rocsparse_operation_lNS_24const_host_device_scalarIT4_EEPKT0_PKT1_PKT2_PT3_21rocsparse_index_base_b.has_dyn_sized_stack, 0
	.set _ZN9rocsparseL17coomvt_aos_kernelILj1024ElDF16_DF16_ffEEv20rocsparse_operation_lNS_24const_host_device_scalarIT4_EEPKT0_PKT1_PKT2_PT3_21rocsparse_index_base_b.has_recursion, 0
	.set _ZN9rocsparseL17coomvt_aos_kernelILj1024ElDF16_DF16_ffEEv20rocsparse_operation_lNS_24const_host_device_scalarIT4_EEPKT0_PKT1_PKT2_PT3_21rocsparse_index_base_b.has_indirect_call, 0
	.section	.AMDGPU.csdata,"",@progbits
; Kernel info:
; codeLenInByte = 324
; TotalNumSgprs: 22
; NumVgprs: 9
; ScratchSize: 0
; MemoryBound: 0
; FloatMode: 240
; IeeeMode: 1
; LDSByteSize: 0 bytes/workgroup (compile time only)
; SGPRBlocks: 2
; VGPRBlocks: 2
; NumSGPRsForWavesPerEU: 22
; NumVGPRsForWavesPerEU: 9
; Occupancy: 10
; WaveLimiterHint : 1
; COMPUTE_PGM_RSRC2:SCRATCH_EN: 0
; COMPUTE_PGM_RSRC2:USER_SGPR: 6
; COMPUTE_PGM_RSRC2:TRAP_HANDLER: 0
; COMPUTE_PGM_RSRC2:TGID_X_EN: 1
; COMPUTE_PGM_RSRC2:TGID_Y_EN: 0
; COMPUTE_PGM_RSRC2:TGID_Z_EN: 0
; COMPUTE_PGM_RSRC2:TIDIG_COMP_CNT: 0
	.section	.text._ZN9rocsparseL26coomvn_aos_segmented_loopsILj256ElDF16_DF16_ffEEvlT0_NS_24const_host_device_scalarIT4_EEPKS1_PKT1_PKT2_PT3_PS1_PS3_21rocsparse_index_base_b,"axG",@progbits,_ZN9rocsparseL26coomvn_aos_segmented_loopsILj256ElDF16_DF16_ffEEvlT0_NS_24const_host_device_scalarIT4_EEPKS1_PKT1_PKT2_PT3_PS1_PS3_21rocsparse_index_base_b,comdat
	.globl	_ZN9rocsparseL26coomvn_aos_segmented_loopsILj256ElDF16_DF16_ffEEvlT0_NS_24const_host_device_scalarIT4_EEPKS1_PKT1_PKT2_PT3_PS1_PS3_21rocsparse_index_base_b ; -- Begin function _ZN9rocsparseL26coomvn_aos_segmented_loopsILj256ElDF16_DF16_ffEEvlT0_NS_24const_host_device_scalarIT4_EEPKS1_PKT1_PKT2_PT3_PS1_PS3_21rocsparse_index_base_b
	.p2align	8
	.type	_ZN9rocsparseL26coomvn_aos_segmented_loopsILj256ElDF16_DF16_ffEEvlT0_NS_24const_host_device_scalarIT4_EEPKS1_PKT1_PKT2_PT3_PS1_PS3_21rocsparse_index_base_b,@function
_ZN9rocsparseL26coomvn_aos_segmented_loopsILj256ElDF16_DF16_ffEEvlT0_NS_24const_host_device_scalarIT4_EEPKS1_PKT1_PKT2_PT3_PS1_PS3_21rocsparse_index_base_b: ; @_ZN9rocsparseL26coomvn_aos_segmented_loopsILj256ElDF16_DF16_ffEEvlT0_NS_24const_host_device_scalarIT4_EEPKS1_PKT1_PKT2_PT3_PS1_PS3_21rocsparse_index_base_b
; %bb.0:
	s_load_dwordx2 s[40:41], s[4:5], 0x48
	s_load_dwordx2 s[34:35], s[4:5], 0x10
	s_waitcnt lgkmcnt(0)
	s_bitcmp1_b32 s41, 0
	s_cselect_b64 s[0:1], -1, 0
	s_and_b64 vcc, exec, s[0:1]
	s_cbranch_vccnz .LBB51_2
; %bb.1:
	s_load_dword s34, s[34:35], 0x0
.LBB51_2:
	s_waitcnt lgkmcnt(0)
	v_cmp_eq_f32_e64 s[0:1], s34, 0
	s_mov_b32 s7, 0
	s_and_b64 vcc, exec, s[0:1]
	s_cbranch_vccnz .LBB51_89
; %bb.3:
	s_load_dwordx4 s[28:31], s[4:5], 0x0
	s_load_dwordx4 s[36:39], s[4:5], 0x18
	s_load_dwordx2 s[46:47], s[4:5], 0x28
	v_mov_b32_e32 v1, -1
	v_mov_b32_e32 v2, -1
	s_waitcnt lgkmcnt(0)
	s_mul_i32 s1, s6, s31
	s_mul_hi_u32 s2, s6, s30
	s_mul_i32 s0, s6, s30
	s_add_i32 s1, s2, s1
	s_lshl_b64 s[0:1], s[0:1], 8
	v_or_b32_e32 v3, s0, v0
	v_mov_b32_e32 v4, s1
	v_cmp_gt_i64_e32 vcc, s[28:29], v[3:4]
	v_mov_b32_e32 v15, 0
	s_and_saveexec_b64 s[0:1], vcc
	s_cbranch_execz .LBB51_5
; %bb.4:
	v_lshlrev_b64 v[1:2], 4, v[3:4]
	v_mov_b32_e32 v5, s37
	v_add_co_u32_e32 v1, vcc, s36, v1
	v_addc_co_u32_e32 v2, vcc, v5, v2, vcc
	global_load_dwordx4 v[5:8], v[1:2], off glc slc
	v_lshlrev_b64 v[1:2], 1, v[3:4]
	v_mov_b32_e32 v9, s39
	v_add_co_u32_e32 v1, vcc, s38, v1
	v_addc_co_u32_e32 v2, vcc, v9, v2, vcc
	global_load_ushort v11, v[1:2], off
	v_mov_b32_e32 v10, s47
	s_ashr_i32 s41, s40, 31
	s_lshl_b64 s[2:3], s[40:41], 1
	v_mov_b32_e32 v9, s3
	s_waitcnt vmcnt(1)
	v_lshlrev_b64 v[1:2], 1, v[7:8]
	v_add_co_u32_e32 v1, vcc, s46, v1
	v_addc_co_u32_e32 v2, vcc, v10, v2, vcc
	v_subrev_co_u32_e32 v1, vcc, s2, v1
	v_subb_co_u32_e32 v2, vcc, v2, v9, vcc
	global_load_ushort v1, v[1:2], off
	s_waitcnt vmcnt(1)
	v_cvt_f32_f16_e32 v7, v11
	s_waitcnt vmcnt(0)
	v_cvt_f32_f16_e32 v8, v1
	v_subrev_co_u32_e32 v1, vcc, s40, v5
	v_subbrev_co_u32_e32 v2, vcc, 0, v6, vcc
	v_mul_f32_e32 v15, v7, v8
.LBB51_5:
	s_or_b64 exec, exec, s[0:1]
	v_lshlrev_b32_e32 v11, 3, v0
	v_lshlrev_b32_e32 v5, 2, v0
	v_or_b32_e32 v12, 0x800, v5
	v_cmp_eq_u32_e64 s[0:1], 0, v0
	v_cmp_ne_u32_e64 s[2:3], 0, v0
	v_add_u32_e32 v13, -8, v11
	ds_write_b64 v11, v[1:2]
	ds_write_b32 v5, v15 offset:2048
	s_waitcnt lgkmcnt(0)
	s_barrier
	s_and_saveexec_b64 s[8:9], s[2:3]
	s_cbranch_execz .LBB51_9
; %bb.6:
	ds_read_b64 v[5:6], v13
	s_waitcnt lgkmcnt(0)
	v_cmp_eq_u64_e32 vcc, v[1:2], v[5:6]
	s_and_saveexec_b64 s[10:11], vcc
	s_cbranch_execz .LBB51_8
; %bb.7:
	v_add_u32_e32 v5, -4, v12
	ds_read_b32 v5, v5
	s_waitcnt lgkmcnt(0)
	v_add_f32_e32 v15, v15, v5
.LBB51_8:
	s_or_b64 exec, exec, s[10:11]
.LBB51_9:
	s_or_b64 exec, exec, s[8:9]
	v_cmp_lt_u32_e64 s[22:23], 1, v0
	v_add_u32_e32 v14, -16, v11
	s_barrier
	ds_write_b32 v12, v15
	s_waitcnt lgkmcnt(0)
	s_barrier
	s_and_saveexec_b64 s[8:9], s[22:23]
	s_cbranch_execz .LBB51_13
; %bb.10:
	ds_read_b64 v[5:6], v14
	s_waitcnt lgkmcnt(0)
	v_cmp_eq_u64_e32 vcc, v[1:2], v[5:6]
	s_and_saveexec_b64 s[10:11], vcc
	s_cbranch_execz .LBB51_12
; %bb.11:
	v_add_u32_e32 v5, -8, v12
	ds_read_b32 v5, v5
	s_waitcnt lgkmcnt(0)
	v_add_f32_e32 v15, v15, v5
.LBB51_12:
	s_or_b64 exec, exec, s[10:11]
.LBB51_13:
	s_or_b64 exec, exec, s[8:9]
	v_cmp_lt_u32_e64 s[8:9], 3, v0
	v_subrev_u32_e32 v16, 32, v11
	s_barrier
	ds_write_b32 v12, v15
	s_waitcnt lgkmcnt(0)
	s_barrier
	s_and_saveexec_b64 s[10:11], s[8:9]
	s_cbranch_execz .LBB51_17
; %bb.14:
	ds_read_b64 v[5:6], v16
	s_waitcnt lgkmcnt(0)
	v_cmp_eq_u64_e32 vcc, v[1:2], v[5:6]
	s_and_saveexec_b64 s[12:13], vcc
	s_cbranch_execz .LBB51_16
; %bb.15:
	v_add_u32_e32 v5, -16, v12
	ds_read_b32 v5, v5
	s_waitcnt lgkmcnt(0)
	v_add_f32_e32 v15, v15, v5
.LBB51_16:
	s_or_b64 exec, exec, s[12:13]
.LBB51_17:
	s_or_b64 exec, exec, s[10:11]
	v_cmp_lt_u32_e64 s[10:11], 7, v0
	v_subrev_u32_e32 v17, 64, v11
	s_barrier
	ds_write_b32 v12, v15
	s_waitcnt lgkmcnt(0)
	s_barrier
	s_and_saveexec_b64 s[12:13], s[10:11]
	s_cbranch_execz .LBB51_21
; %bb.18:
	ds_read_b64 v[5:6], v17
	s_waitcnt lgkmcnt(0)
	v_cmp_eq_u64_e32 vcc, v[1:2], v[5:6]
	s_and_saveexec_b64 s[14:15], vcc
	s_cbranch_execz .LBB51_20
; %bb.19:
	v_subrev_u32_e32 v5, 32, v12
	ds_read_b32 v5, v5
	s_waitcnt lgkmcnt(0)
	v_add_f32_e32 v15, v15, v5
.LBB51_20:
	s_or_b64 exec, exec, s[14:15]
.LBB51_21:
	s_or_b64 exec, exec, s[12:13]
	v_cmp_lt_u32_e64 s[12:13], 15, v0
	s_barrier
	ds_write_b32 v12, v15
	s_waitcnt lgkmcnt(0)
	s_barrier
	s_and_saveexec_b64 s[14:15], s[12:13]
	s_cbranch_execz .LBB51_25
; %bb.22:
	v_add_u32_e32 v5, 0xffffff80, v11
	ds_read_b64 v[5:6], v5
	s_waitcnt lgkmcnt(0)
	v_cmp_eq_u64_e32 vcc, v[1:2], v[5:6]
	s_and_saveexec_b64 s[16:17], vcc
	s_cbranch_execz .LBB51_24
; %bb.23:
	v_subrev_u32_e32 v5, 64, v12
	ds_read_b32 v5, v5
	s_waitcnt lgkmcnt(0)
	v_add_f32_e32 v15, v15, v5
.LBB51_24:
	s_or_b64 exec, exec, s[16:17]
.LBB51_25:
	s_or_b64 exec, exec, s[14:15]
	v_cmp_lt_u32_e64 s[14:15], 31, v0
	s_barrier
	ds_write_b32 v12, v15
	s_waitcnt lgkmcnt(0)
	s_barrier
	s_and_saveexec_b64 s[16:17], s[14:15]
	s_cbranch_execz .LBB51_29
; %bb.26:
	v_add_u32_e32 v5, 0xffffff00, v11
	ds_read_b64 v[5:6], v5
	s_waitcnt lgkmcnt(0)
	v_cmp_eq_u64_e32 vcc, v[1:2], v[5:6]
	s_and_saveexec_b64 s[18:19], vcc
	s_cbranch_execz .LBB51_28
; %bb.27:
	v_add_u32_e32 v5, 0xffffff80, v12
	ds_read_b32 v5, v5
	s_waitcnt lgkmcnt(0)
	v_add_f32_e32 v15, v15, v5
.LBB51_28:
	s_or_b64 exec, exec, s[18:19]
.LBB51_29:
	s_or_b64 exec, exec, s[16:17]
	v_cmp_lt_u32_e64 s[16:17], 63, v0
	s_barrier
	ds_write_b32 v12, v15
	s_waitcnt lgkmcnt(0)
	s_barrier
	s_and_saveexec_b64 s[18:19], s[16:17]
	s_cbranch_execz .LBB51_33
; %bb.30:
	v_add_u32_e32 v5, 0xfffffe00, v11
	ds_read_b64 v[5:6], v5
	s_waitcnt lgkmcnt(0)
	v_cmp_eq_u64_e32 vcc, v[1:2], v[5:6]
	s_and_saveexec_b64 s[20:21], vcc
	s_cbranch_execz .LBB51_32
; %bb.31:
	v_add_u32_e32 v5, 0xffffff00, v12
	ds_read_b32 v5, v5
	s_waitcnt lgkmcnt(0)
	v_add_f32_e32 v15, v15, v5
.LBB51_32:
	s_or_b64 exec, exec, s[20:21]
.LBB51_33:
	s_or_b64 exec, exec, s[18:19]
	s_load_dwordx2 s[42:43], s[4:5], 0x30
	s_movk_i32 s18, 0x7f
	v_cmp_lt_u32_e64 s[18:19], s18, v0
	s_waitcnt lgkmcnt(0)
	s_barrier
	ds_write_b32 v12, v15
	s_waitcnt lgkmcnt(0)
	s_barrier
	s_and_saveexec_b64 s[20:21], s[18:19]
	s_cbranch_execz .LBB51_37
; %bb.34:
	v_add_u32_e32 v5, 0xfffffc00, v11
	ds_read_b64 v[5:6], v5
	s_waitcnt lgkmcnt(0)
	v_cmp_eq_u64_e32 vcc, v[1:2], v[5:6]
	s_and_saveexec_b64 s[24:25], vcc
	s_cbranch_execz .LBB51_36
; %bb.35:
	v_add_u32_e32 v5, 0xfffffe00, v12
	ds_read_b32 v5, v5
	s_waitcnt lgkmcnt(0)
	v_add_f32_e32 v15, v15, v5
.LBB51_36:
	s_or_b64 exec, exec, s[24:25]
.LBB51_37:
	s_or_b64 exec, exec, s[20:21]
	s_movk_i32 s20, 0xff
	v_cmp_gt_u32_e64 s[20:21], s20, v0
	s_barrier
	ds_write_b32 v12, v15
	s_waitcnt lgkmcnt(0)
	s_barrier
	s_and_saveexec_b64 s[26:27], s[20:21]
	s_cbranch_execz .LBB51_40
; %bb.38:
	ds_read_b64 v[5:6], v11 offset:8
	v_cmp_lt_i64_e64 s[24:25], -1, v[1:2]
	s_waitcnt lgkmcnt(0)
	v_cmp_ne_u64_e32 vcc, v[1:2], v[5:6]
	s_and_b64 s[24:25], s[24:25], vcc
	s_and_b64 exec, exec, s[24:25]
	s_cbranch_execz .LBB51_40
; %bb.39:
	v_lshlrev_b64 v[5:6], 2, v[1:2]
	v_mov_b32_e32 v7, s43
	v_add_co_u32_e32 v5, vcc, s42, v5
	v_addc_co_u32_e32 v6, vcc, v7, v6, vcc
	global_load_dword v7, v[5:6], off
	s_waitcnt vmcnt(0)
	v_fmac_f32_e32 v7, s34, v15
	global_store_dword v[5:6], v7, off
.LBB51_40:
	s_or_b64 exec, exec, s[26:27]
	s_load_dwordx4 s[24:27], s[4:5], 0x38
	v_cmp_lt_i64_e64 s[4:5], s[30:31], 2
	s_and_b64 vcc, exec, s[4:5]
	s_cbranch_vccnz .LBB51_87
; %bb.41:
	s_add_u32 s44, s30, -1
	s_addc_u32 s45, s31, -1
	s_ashr_i32 s41, s40, 31
	s_lshl_b64 s[4:5], s[40:41], 1
	s_sub_u32 s33, s46, s4
	s_subb_u32 s35, s47, s5
	s_mul_i32 s4, s31, s6
	s_mul_hi_u32 s5, s30, s6
	s_add_i32 s5, s5, s4
	s_mul_i32 s4, s30, s6
	s_lshl_b64 s[30:31], s[4:5], 9
	s_add_u32 s30, s38, s30
	s_addc_u32 s31, s39, s31
	s_lshl_b64 s[4:5], s[4:5], 12
	s_add_u32 s4, s36, s4
	v_lshlrev_b32_e32 v2, 4, v0
	s_addc_u32 s5, s37, s5
	v_mov_b32_e32 v5, s5
	v_add_co_u32_e32 v2, vcc, s4, v2
	v_addc_co_u32_e32 v6, vcc, 0, v5, vcc
	s_movk_i32 s4, 0x1008
	v_add_co_u32_e32 v5, vcc, s4, v2
	s_movk_i32 s36, 0x100
	s_mov_b64 s[4:5], vcc
	v_add_co_u32_e32 v3, vcc, s36, v3
	v_lshlrev_b32_e32 v1, 1, v0
	v_addc_co_u32_e32 v4, vcc, 0, v4, vcc
	v_mov_b32_e32 v2, s31
	v_add_co_u32_e32 v1, vcc, s30, v1
	v_addc_co_u32_e32 v2, vcc, 0, v2, vcc
	s_movk_i32 s30, 0x200
	v_add_co_u32_e32 v7, vcc, s30, v1
	v_add_u32_e32 v18, -16, v12
	v_subrev_u32_e32 v19, 32, v12
	v_add_u32_e32 v20, 0xffffff80, v11
	v_subrev_u32_e32 v21, 64, v12
	v_add_u32_e32 v22, 0xffffff00, v11
	v_add_u32_e32 v23, 0xffffff80, v12
	v_add_u32_e32 v24, 0xfffffe00, v11
	v_addc_co_u32_e32 v8, vcc, 0, v2, vcc
	v_add_u32_e32 v25, 0xffffff00, v12
	v_addc_co_u32_e64 v6, vcc, 0, v6, s[4:5]
	v_add_u32_e32 v26, 0xfffffc00, v11
	s_mov_b64 s[30:31], 0
	v_add_u32_e32 v27, 0xfffffe00, v12
	v_mov_b32_e32 v28, 0
	s_branch .LBB51_43
.LBB51_42:                              ;   in Loop: Header=BB51_43 Depth=1
	s_or_b64 exec, exec, s[36:37]
	v_add_co_u32_e32 v7, vcc, 0x200, v7
	v_addc_co_u32_e32 v8, vcc, 0, v8, vcc
	s_add_u32 s30, s30, 1
	v_add_co_u32_e32 v5, vcc, 0x1000, v5
	s_addc_u32 s31, s31, 0
	v_mov_b32_e32 v9, s30
	v_addc_co_u32_e32 v6, vcc, 0, v6, vcc
	v_mov_b32_e32 v10, s31
	v_add_co_u32_e32 v3, vcc, 0x100, v3
	v_cmp_le_u64_e64 s[4:5], s[44:45], v[9:10]
	v_addc_co_u32_e32 v4, vcc, 0, v4, vcc
	s_and_b64 vcc, exec, s[4:5]
	s_cbranch_vccnz .LBB51_87
.LBB51_43:                              ; =>This Inner Loop Header: Depth=1
	v_cmp_gt_i64_e32 vcc, s[28:29], v[3:4]
	v_mov_b32_e32 v1, -1
	v_mov_b32_e32 v2, -1
	v_mov_b32_e32 v15, 0
	s_and_saveexec_b64 s[4:5], vcc
	s_cbranch_execz .LBB51_45
; %bb.44:                               ;   in Loop: Header=BB51_43 Depth=1
	global_load_dwordx4 v[29:32], v[5:6], off offset:-8 glc slc
	global_load_ushort v9, v[7:8], off
	v_mov_b32_e32 v10, s35
	s_waitcnt vmcnt(1)
	v_lshlrev_b64 v[1:2], 1, v[31:32]
	s_waitcnt vmcnt(0)
	v_cvt_f32_f16_e32 v9, v9
	v_add_co_u32_e32 v1, vcc, s33, v1
	v_addc_co_u32_e32 v2, vcc, v10, v2, vcc
	global_load_ushort v1, v[1:2], off
	s_waitcnt vmcnt(0)
	v_cvt_f32_f16_e32 v10, v1
	v_subrev_co_u32_e32 v1, vcc, s40, v29
	v_subbrev_co_u32_e32 v2, vcc, 0, v30, vcc
	v_mul_f32_e32 v15, v9, v10
.LBB51_45:                              ;   in Loop: Header=BB51_43 Depth=1
	s_or_b64 exec, exec, s[4:5]
	s_and_saveexec_b64 s[4:5], s[0:1]
	s_cbranch_execz .LBB51_52
; %bb.46:                               ;   in Loop: Header=BB51_43 Depth=1
	ds_read_b64 v[9:10], v28 offset:2040
	s_waitcnt lgkmcnt(0)
	v_cmp_ne_u64_e32 vcc, v[1:2], v[9:10]
	s_and_saveexec_b64 s[36:37], vcc
	s_xor_b64 s[36:37], exec, s[36:37]
	s_cbranch_execz .LBB51_49
; %bb.47:                               ;   in Loop: Header=BB51_43 Depth=1
	v_cmp_gt_i64_e32 vcc, 0, v[9:10]
	s_cbranch_vccnz .LBB51_49
; %bb.48:                               ;   in Loop: Header=BB51_43 Depth=1
	v_lshlrev_b64 v[9:10], 2, v[9:10]
	v_mov_b32_e32 v29, s43
	v_add_co_u32_e32 v9, vcc, s42, v9
	v_addc_co_u32_e32 v10, vcc, v29, v10, vcc
	global_load_dword v29, v[9:10], off
	ds_read_b32 v30, v28 offset:3068
	s_waitcnt vmcnt(0) lgkmcnt(0)
	v_fmac_f32_e32 v29, s34, v30
	global_store_dword v[9:10], v29, off
.LBB51_49:                              ;   in Loop: Header=BB51_43 Depth=1
	s_andn2_saveexec_b64 s[36:37], s[36:37]
	s_cbranch_execz .LBB51_51
; %bb.50:                               ;   in Loop: Header=BB51_43 Depth=1
	ds_read_b32 v9, v28 offset:3068
	s_waitcnt lgkmcnt(0)
	v_add_f32_e32 v15, v15, v9
.LBB51_51:                              ;   in Loop: Header=BB51_43 Depth=1
	s_or_b64 exec, exec, s[36:37]
.LBB51_52:                              ;   in Loop: Header=BB51_43 Depth=1
	s_or_b64 exec, exec, s[4:5]
	s_waitcnt vmcnt(0) lgkmcnt(0)
	s_barrier
	ds_write_b64 v11, v[1:2]
	ds_write_b32 v12, v15
	s_waitcnt lgkmcnt(0)
	s_barrier
	s_and_saveexec_b64 s[4:5], s[2:3]
	s_cbranch_execz .LBB51_56
; %bb.53:                               ;   in Loop: Header=BB51_43 Depth=1
	ds_read_b64 v[9:10], v13
	s_waitcnt lgkmcnt(0)
	v_cmp_eq_u64_e32 vcc, v[1:2], v[9:10]
	s_and_saveexec_b64 s[36:37], vcc
	s_cbranch_execz .LBB51_55
; %bb.54:                               ;   in Loop: Header=BB51_43 Depth=1
	v_add_u32_e32 v9, -4, v12
	ds_read_b32 v9, v9
	s_waitcnt lgkmcnt(0)
	v_add_f32_e32 v15, v15, v9
.LBB51_55:                              ;   in Loop: Header=BB51_43 Depth=1
	s_or_b64 exec, exec, s[36:37]
.LBB51_56:                              ;   in Loop: Header=BB51_43 Depth=1
	s_or_b64 exec, exec, s[4:5]
	s_barrier
	ds_write_b32 v12, v15
	s_waitcnt lgkmcnt(0)
	s_barrier
	s_and_saveexec_b64 s[4:5], s[22:23]
	s_cbranch_execz .LBB51_60
; %bb.57:                               ;   in Loop: Header=BB51_43 Depth=1
	ds_read_b64 v[9:10], v14
	s_waitcnt lgkmcnt(0)
	v_cmp_eq_u64_e32 vcc, v[1:2], v[9:10]
	s_and_saveexec_b64 s[36:37], vcc
	s_cbranch_execz .LBB51_59
; %bb.58:                               ;   in Loop: Header=BB51_43 Depth=1
	v_add_u32_e32 v9, -8, v12
	ds_read_b32 v9, v9
	s_waitcnt lgkmcnt(0)
	v_add_f32_e32 v15, v15, v9
.LBB51_59:                              ;   in Loop: Header=BB51_43 Depth=1
	s_or_b64 exec, exec, s[36:37]
.LBB51_60:                              ;   in Loop: Header=BB51_43 Depth=1
	s_or_b64 exec, exec, s[4:5]
	s_barrier
	ds_write_b32 v12, v15
	s_waitcnt lgkmcnt(0)
	s_barrier
	s_and_saveexec_b64 s[4:5], s[8:9]
	s_cbranch_execz .LBB51_64
; %bb.61:                               ;   in Loop: Header=BB51_43 Depth=1
	ds_read_b64 v[9:10], v16
	s_waitcnt lgkmcnt(0)
	v_cmp_eq_u64_e32 vcc, v[1:2], v[9:10]
	s_and_saveexec_b64 s[36:37], vcc
	s_cbranch_execz .LBB51_63
; %bb.62:                               ;   in Loop: Header=BB51_43 Depth=1
	ds_read_b32 v9, v18
	s_waitcnt lgkmcnt(0)
	v_add_f32_e32 v15, v15, v9
.LBB51_63:                              ;   in Loop: Header=BB51_43 Depth=1
	s_or_b64 exec, exec, s[36:37]
.LBB51_64:                              ;   in Loop: Header=BB51_43 Depth=1
	s_or_b64 exec, exec, s[4:5]
	s_barrier
	ds_write_b32 v12, v15
	s_waitcnt lgkmcnt(0)
	s_barrier
	s_and_saveexec_b64 s[4:5], s[10:11]
	s_cbranch_execz .LBB51_68
; %bb.65:                               ;   in Loop: Header=BB51_43 Depth=1
	ds_read_b64 v[9:10], v17
	s_waitcnt lgkmcnt(0)
	v_cmp_eq_u64_e32 vcc, v[1:2], v[9:10]
	s_and_saveexec_b64 s[36:37], vcc
	s_cbranch_execz .LBB51_67
; %bb.66:                               ;   in Loop: Header=BB51_43 Depth=1
	ds_read_b32 v9, v19
	s_waitcnt lgkmcnt(0)
	v_add_f32_e32 v15, v15, v9
.LBB51_67:                              ;   in Loop: Header=BB51_43 Depth=1
	s_or_b64 exec, exec, s[36:37]
.LBB51_68:                              ;   in Loop: Header=BB51_43 Depth=1
	s_or_b64 exec, exec, s[4:5]
	s_barrier
	ds_write_b32 v12, v15
	s_waitcnt lgkmcnt(0)
	s_barrier
	s_and_saveexec_b64 s[4:5], s[12:13]
	s_cbranch_execz .LBB51_72
; %bb.69:                               ;   in Loop: Header=BB51_43 Depth=1
	ds_read_b64 v[9:10], v20
	s_waitcnt lgkmcnt(0)
	v_cmp_eq_u64_e32 vcc, v[1:2], v[9:10]
	s_and_saveexec_b64 s[36:37], vcc
	s_cbranch_execz .LBB51_71
; %bb.70:                               ;   in Loop: Header=BB51_43 Depth=1
	ds_read_b32 v9, v21
	s_waitcnt lgkmcnt(0)
	v_add_f32_e32 v15, v15, v9
.LBB51_71:                              ;   in Loop: Header=BB51_43 Depth=1
	s_or_b64 exec, exec, s[36:37]
.LBB51_72:                              ;   in Loop: Header=BB51_43 Depth=1
	s_or_b64 exec, exec, s[4:5]
	s_barrier
	ds_write_b32 v12, v15
	s_waitcnt lgkmcnt(0)
	s_barrier
	s_and_saveexec_b64 s[4:5], s[14:15]
	s_cbranch_execz .LBB51_76
; %bb.73:                               ;   in Loop: Header=BB51_43 Depth=1
	ds_read_b64 v[9:10], v22
	s_waitcnt lgkmcnt(0)
	v_cmp_eq_u64_e32 vcc, v[1:2], v[9:10]
	s_and_saveexec_b64 s[36:37], vcc
	s_cbranch_execz .LBB51_75
; %bb.74:                               ;   in Loop: Header=BB51_43 Depth=1
	ds_read_b32 v9, v23
	s_waitcnt lgkmcnt(0)
	v_add_f32_e32 v15, v15, v9
.LBB51_75:                              ;   in Loop: Header=BB51_43 Depth=1
	s_or_b64 exec, exec, s[36:37]
.LBB51_76:                              ;   in Loop: Header=BB51_43 Depth=1
	s_or_b64 exec, exec, s[4:5]
	s_barrier
	ds_write_b32 v12, v15
	s_waitcnt lgkmcnt(0)
	s_barrier
	s_and_saveexec_b64 s[4:5], s[16:17]
	s_cbranch_execz .LBB51_80
; %bb.77:                               ;   in Loop: Header=BB51_43 Depth=1
	ds_read_b64 v[9:10], v24
	s_waitcnt lgkmcnt(0)
	v_cmp_eq_u64_e32 vcc, v[1:2], v[9:10]
	s_and_saveexec_b64 s[36:37], vcc
	s_cbranch_execz .LBB51_79
; %bb.78:                               ;   in Loop: Header=BB51_43 Depth=1
	ds_read_b32 v9, v25
	s_waitcnt lgkmcnt(0)
	v_add_f32_e32 v15, v15, v9
.LBB51_79:                              ;   in Loop: Header=BB51_43 Depth=1
	s_or_b64 exec, exec, s[36:37]
.LBB51_80:                              ;   in Loop: Header=BB51_43 Depth=1
	s_or_b64 exec, exec, s[4:5]
	s_barrier
	ds_write_b32 v12, v15
	s_waitcnt lgkmcnt(0)
	s_barrier
	s_and_saveexec_b64 s[4:5], s[18:19]
	s_cbranch_execz .LBB51_84
; %bb.81:                               ;   in Loop: Header=BB51_43 Depth=1
	ds_read_b64 v[9:10], v26
	s_waitcnt lgkmcnt(0)
	v_cmp_eq_u64_e32 vcc, v[1:2], v[9:10]
	s_and_saveexec_b64 s[36:37], vcc
	s_cbranch_execz .LBB51_83
; %bb.82:                               ;   in Loop: Header=BB51_43 Depth=1
	ds_read_b32 v9, v27
	s_waitcnt lgkmcnt(0)
	v_add_f32_e32 v15, v15, v9
.LBB51_83:                              ;   in Loop: Header=BB51_43 Depth=1
	s_or_b64 exec, exec, s[36:37]
.LBB51_84:                              ;   in Loop: Header=BB51_43 Depth=1
	s_or_b64 exec, exec, s[4:5]
	s_barrier
	ds_write_b32 v12, v15
	s_waitcnt lgkmcnt(0)
	s_barrier
	s_and_saveexec_b64 s[36:37], s[20:21]
	s_cbranch_execz .LBB51_42
; %bb.85:                               ;   in Loop: Header=BB51_43 Depth=1
	ds_read_b64 v[9:10], v11 offset:8
	v_cmp_lt_i64_e64 s[4:5], -1, v[1:2]
	s_waitcnt lgkmcnt(0)
	v_cmp_ne_u64_e32 vcc, v[1:2], v[9:10]
	s_and_b64 s[4:5], s[4:5], vcc
	s_and_b64 exec, exec, s[4:5]
	s_cbranch_execz .LBB51_42
; %bb.86:                               ;   in Loop: Header=BB51_43 Depth=1
	v_lshlrev_b64 v[9:10], 2, v[1:2]
	v_mov_b32_e32 v29, s43
	v_add_co_u32_e32 v9, vcc, s42, v9
	v_addc_co_u32_e32 v10, vcc, v29, v10, vcc
	global_load_dword v29, v[9:10], off
	s_waitcnt vmcnt(0)
	v_fmac_f32_e32 v29, s34, v15
	global_store_dword v[9:10], v29, off
	s_branch .LBB51_42
.LBB51_87:
	s_movk_i32 s0, 0xff
	v_cmp_eq_u32_e32 vcc, s0, v0
	s_and_saveexec_b64 s[0:1], vcc
	s_cbranch_execz .LBB51_89
; %bb.88:
	s_lshl_b64 s[0:1], s[6:7], 3
	s_waitcnt lgkmcnt(0)
	s_add_u32 s0, s24, s0
	s_addc_u32 s1, s25, s1
	s_lshl_b64 s[2:3], s[6:7], 2
	v_mov_b32_e32 v0, 0
	s_add_u32 s2, s26, s2
	v_mul_f32_e32 v3, s34, v15
	s_addc_u32 s3, s27, s3
	global_store_dwordx2 v0, v[1:2], s[0:1] glc slc
	global_store_dword v0, v3, s[2:3] glc slc
.LBB51_89:
	s_endpgm
	.section	.rodata,"a",@progbits
	.p2align	6, 0x0
	.amdhsa_kernel _ZN9rocsparseL26coomvn_aos_segmented_loopsILj256ElDF16_DF16_ffEEvlT0_NS_24const_host_device_scalarIT4_EEPKS1_PKT1_PKT2_PT3_PS1_PS3_21rocsparse_index_base_b
		.amdhsa_group_segment_fixed_size 3072
		.amdhsa_private_segment_fixed_size 0
		.amdhsa_kernarg_size 80
		.amdhsa_user_sgpr_count 6
		.amdhsa_user_sgpr_private_segment_buffer 1
		.amdhsa_user_sgpr_dispatch_ptr 0
		.amdhsa_user_sgpr_queue_ptr 0
		.amdhsa_user_sgpr_kernarg_segment_ptr 1
		.amdhsa_user_sgpr_dispatch_id 0
		.amdhsa_user_sgpr_flat_scratch_init 0
		.amdhsa_user_sgpr_private_segment_size 0
		.amdhsa_uses_dynamic_stack 0
		.amdhsa_system_sgpr_private_segment_wavefront_offset 0
		.amdhsa_system_sgpr_workgroup_id_x 1
		.amdhsa_system_sgpr_workgroup_id_y 0
		.amdhsa_system_sgpr_workgroup_id_z 0
		.amdhsa_system_sgpr_workgroup_info 0
		.amdhsa_system_vgpr_workitem_id 0
		.amdhsa_next_free_vgpr 33
		.amdhsa_next_free_sgpr 48
		.amdhsa_reserve_vcc 1
		.amdhsa_reserve_flat_scratch 0
		.amdhsa_float_round_mode_32 0
		.amdhsa_float_round_mode_16_64 0
		.amdhsa_float_denorm_mode_32 3
		.amdhsa_float_denorm_mode_16_64 3
		.amdhsa_dx10_clamp 1
		.amdhsa_ieee_mode 1
		.amdhsa_fp16_overflow 0
		.amdhsa_exception_fp_ieee_invalid_op 0
		.amdhsa_exception_fp_denorm_src 0
		.amdhsa_exception_fp_ieee_div_zero 0
		.amdhsa_exception_fp_ieee_overflow 0
		.amdhsa_exception_fp_ieee_underflow 0
		.amdhsa_exception_fp_ieee_inexact 0
		.amdhsa_exception_int_div_zero 0
	.end_amdhsa_kernel
	.section	.text._ZN9rocsparseL26coomvn_aos_segmented_loopsILj256ElDF16_DF16_ffEEvlT0_NS_24const_host_device_scalarIT4_EEPKS1_PKT1_PKT2_PT3_PS1_PS3_21rocsparse_index_base_b,"axG",@progbits,_ZN9rocsparseL26coomvn_aos_segmented_loopsILj256ElDF16_DF16_ffEEvlT0_NS_24const_host_device_scalarIT4_EEPKS1_PKT1_PKT2_PT3_PS1_PS3_21rocsparse_index_base_b,comdat
.Lfunc_end51:
	.size	_ZN9rocsparseL26coomvn_aos_segmented_loopsILj256ElDF16_DF16_ffEEvlT0_NS_24const_host_device_scalarIT4_EEPKS1_PKT1_PKT2_PT3_PS1_PS3_21rocsparse_index_base_b, .Lfunc_end51-_ZN9rocsparseL26coomvn_aos_segmented_loopsILj256ElDF16_DF16_ffEEvlT0_NS_24const_host_device_scalarIT4_EEPKS1_PKT1_PKT2_PT3_PS1_PS3_21rocsparse_index_base_b
                                        ; -- End function
	.set _ZN9rocsparseL26coomvn_aos_segmented_loopsILj256ElDF16_DF16_ffEEvlT0_NS_24const_host_device_scalarIT4_EEPKS1_PKT1_PKT2_PT3_PS1_PS3_21rocsparse_index_base_b.num_vgpr, 33
	.set _ZN9rocsparseL26coomvn_aos_segmented_loopsILj256ElDF16_DF16_ffEEvlT0_NS_24const_host_device_scalarIT4_EEPKS1_PKT1_PKT2_PT3_PS1_PS3_21rocsparse_index_base_b.num_agpr, 0
	.set _ZN9rocsparseL26coomvn_aos_segmented_loopsILj256ElDF16_DF16_ffEEvlT0_NS_24const_host_device_scalarIT4_EEPKS1_PKT1_PKT2_PT3_PS1_PS3_21rocsparse_index_base_b.numbered_sgpr, 48
	.set _ZN9rocsparseL26coomvn_aos_segmented_loopsILj256ElDF16_DF16_ffEEvlT0_NS_24const_host_device_scalarIT4_EEPKS1_PKT1_PKT2_PT3_PS1_PS3_21rocsparse_index_base_b.num_named_barrier, 0
	.set _ZN9rocsparseL26coomvn_aos_segmented_loopsILj256ElDF16_DF16_ffEEvlT0_NS_24const_host_device_scalarIT4_EEPKS1_PKT1_PKT2_PT3_PS1_PS3_21rocsparse_index_base_b.private_seg_size, 0
	.set _ZN9rocsparseL26coomvn_aos_segmented_loopsILj256ElDF16_DF16_ffEEvlT0_NS_24const_host_device_scalarIT4_EEPKS1_PKT1_PKT2_PT3_PS1_PS3_21rocsparse_index_base_b.uses_vcc, 1
	.set _ZN9rocsparseL26coomvn_aos_segmented_loopsILj256ElDF16_DF16_ffEEvlT0_NS_24const_host_device_scalarIT4_EEPKS1_PKT1_PKT2_PT3_PS1_PS3_21rocsparse_index_base_b.uses_flat_scratch, 0
	.set _ZN9rocsparseL26coomvn_aos_segmented_loopsILj256ElDF16_DF16_ffEEvlT0_NS_24const_host_device_scalarIT4_EEPKS1_PKT1_PKT2_PT3_PS1_PS3_21rocsparse_index_base_b.has_dyn_sized_stack, 0
	.set _ZN9rocsparseL26coomvn_aos_segmented_loopsILj256ElDF16_DF16_ffEEvlT0_NS_24const_host_device_scalarIT4_EEPKS1_PKT1_PKT2_PT3_PS1_PS3_21rocsparse_index_base_b.has_recursion, 0
	.set _ZN9rocsparseL26coomvn_aos_segmented_loopsILj256ElDF16_DF16_ffEEvlT0_NS_24const_host_device_scalarIT4_EEPKS1_PKT1_PKT2_PT3_PS1_PS3_21rocsparse_index_base_b.has_indirect_call, 0
	.section	.AMDGPU.csdata,"",@progbits
; Kernel info:
; codeLenInByte = 2580
; TotalNumSgprs: 52
; NumVgprs: 33
; ScratchSize: 0
; MemoryBound: 0
; FloatMode: 240
; IeeeMode: 1
; LDSByteSize: 3072 bytes/workgroup (compile time only)
; SGPRBlocks: 6
; VGPRBlocks: 8
; NumSGPRsForWavesPerEU: 52
; NumVGPRsForWavesPerEU: 33
; Occupancy: 7
; WaveLimiterHint : 1
; COMPUTE_PGM_RSRC2:SCRATCH_EN: 0
; COMPUTE_PGM_RSRC2:USER_SGPR: 6
; COMPUTE_PGM_RSRC2:TRAP_HANDLER: 0
; COMPUTE_PGM_RSRC2:TGID_X_EN: 1
; COMPUTE_PGM_RSRC2:TGID_Y_EN: 0
; COMPUTE_PGM_RSRC2:TGID_Z_EN: 0
; COMPUTE_PGM_RSRC2:TIDIG_COMP_CNT: 0
	.section	.text._ZN9rocsparseL23coomvn_aos_atomic_loopsILj256ELj1Ei18rocsparse_bfloat16S1_ffEEvlNS_24const_host_device_scalarIT5_EEPKT1_PKT2_PKT3_PT4_21rocsparse_index_base_b,"axG",@progbits,_ZN9rocsparseL23coomvn_aos_atomic_loopsILj256ELj1Ei18rocsparse_bfloat16S1_ffEEvlNS_24const_host_device_scalarIT5_EEPKT1_PKT2_PKT3_PT4_21rocsparse_index_base_b,comdat
	.globl	_ZN9rocsparseL23coomvn_aos_atomic_loopsILj256ELj1Ei18rocsparse_bfloat16S1_ffEEvlNS_24const_host_device_scalarIT5_EEPKT1_PKT2_PKT3_PT4_21rocsparse_index_base_b ; -- Begin function _ZN9rocsparseL23coomvn_aos_atomic_loopsILj256ELj1Ei18rocsparse_bfloat16S1_ffEEvlNS_24const_host_device_scalarIT5_EEPKT1_PKT2_PKT3_PT4_21rocsparse_index_base_b
	.p2align	8
	.type	_ZN9rocsparseL23coomvn_aos_atomic_loopsILj256ELj1Ei18rocsparse_bfloat16S1_ffEEvlNS_24const_host_device_scalarIT5_EEPKT1_PKT2_PKT3_PT4_21rocsparse_index_base_b,@function
_ZN9rocsparseL23coomvn_aos_atomic_loopsILj256ELj1Ei18rocsparse_bfloat16S1_ffEEvlNS_24const_host_device_scalarIT5_EEPKT1_PKT2_PKT3_PT4_21rocsparse_index_base_b: ; @_ZN9rocsparseL23coomvn_aos_atomic_loopsILj256ELj1Ei18rocsparse_bfloat16S1_ffEEvlNS_24const_host_device_scalarIT5_EEPKT1_PKT2_PKT3_PT4_21rocsparse_index_base_b
; %bb.0:
	s_load_dwordx2 s[8:9], s[4:5], 0x30
	s_load_dwordx4 s[0:3], s[4:5], 0x0
	s_waitcnt lgkmcnt(0)
	s_bitcmp1_b32 s9, 0
	s_cselect_b64 s[10:11], -1, 0
	s_and_b64 vcc, exec, s[10:11]
	s_cbranch_vccnz .LBB52_2
; %bb.1:
	s_load_dword s2, s[2:3], 0x0
.LBB52_2:
	s_waitcnt lgkmcnt(0)
	v_cmp_eq_f32_e64 s[10:11], s2, 0
	s_and_b64 vcc, exec, s[10:11]
	s_cbranch_vccnz .LBB52_44
; %bb.3:
	v_lshl_or_b32 v1, s6, 8, v0
	v_mov_b32_e32 v2, 0
	v_cmp_gt_i64_e32 vcc, s[0:1], v[1:2]
	v_mov_b32_e32 v3, -1
	s_and_saveexec_b64 s[0:1], vcc
	s_cbranch_execz .LBB52_5
; %bb.4:
	s_load_dwordx4 s[12:15], s[4:5], 0x10
	s_load_dwordx2 s[6:7], s[4:5], 0x20
	v_lshlrev_b64 v[3:4], 3, v[1:2]
	v_lshlrev_b64 v[1:2], 1, v[1:2]
	s_waitcnt lgkmcnt(0)
	v_mov_b32_e32 v5, s13
	v_add_co_u32_e32 v3, vcc, s12, v3
	v_addc_co_u32_e32 v4, vcc, v5, v4, vcc
	global_load_dwordx2 v[3:4], v[3:4], off glc slc
	v_mov_b32_e32 v5, s15
	v_add_co_u32_e32 v1, vcc, s14, v1
	v_addc_co_u32_e32 v2, vcc, v5, v2, vcc
	v_mov_b32_e32 v6, s7
	s_waitcnt vmcnt(0)
	v_subrev_u32_e32 v4, s8, v4
	v_ashrrev_i32_e32 v5, 31, v4
	v_lshlrev_b64 v[4:5], 1, v[4:5]
	v_subrev_u32_e32 v3, s8, v3
	v_add_co_u32_e32 v4, vcc, s6, v4
	v_addc_co_u32_e32 v5, vcc, v6, v5, vcc
	global_load_ushort v6, v[4:5], off
	global_load_ushort v7, v[1:2], off
	s_waitcnt vmcnt(1)
	v_lshlrev_b32_e32 v1, 16, v6
	s_waitcnt vmcnt(0)
	v_lshlrev_b32_e32 v2, 16, v7
	v_mul_f32_e32 v2, v2, v1
.LBB52_5:
	s_or_b64 exec, exec, s[0:1]
	v_lshlrev_b32_e32 v1, 2, v0
	v_or_b32_e32 v4, 0x400, v1
	v_cmp_ne_u32_e32 vcc, 0, v0
	ds_write2st64_b32 v1, v3, v2 offset1:4
	s_waitcnt lgkmcnt(0)
	s_barrier
	s_and_saveexec_b64 s[0:1], vcc
	s_cbranch_execz .LBB52_9
; %bb.6:
	v_add_u32_e32 v5, -4, v1
	ds_read_b32 v5, v5
	s_waitcnt lgkmcnt(0)
	v_cmp_eq_u32_e32 vcc, v3, v5
	s_and_saveexec_b64 s[6:7], vcc
	s_cbranch_execz .LBB52_8
; %bb.7:
	v_add_u32_e32 v5, -4, v4
	ds_read_b32 v5, v5
	s_waitcnt lgkmcnt(0)
	v_add_f32_e32 v2, v2, v5
.LBB52_8:
	s_or_b64 exec, exec, s[6:7]
.LBB52_9:
	s_or_b64 exec, exec, s[0:1]
	v_cmp_lt_u32_e32 vcc, 1, v0
	s_barrier
	ds_write_b32 v4, v2
	s_waitcnt lgkmcnt(0)
	s_barrier
	s_and_saveexec_b64 s[0:1], vcc
	s_cbranch_execz .LBB52_13
; %bb.10:
	v_add_u32_e32 v5, -8, v1
	ds_read_b32 v5, v5
	s_waitcnt lgkmcnt(0)
	v_cmp_eq_u32_e32 vcc, v3, v5
	s_and_saveexec_b64 s[6:7], vcc
	s_cbranch_execz .LBB52_12
; %bb.11:
	v_add_u32_e32 v5, -8, v4
	ds_read_b32 v5, v5
	s_waitcnt lgkmcnt(0)
	v_add_f32_e32 v2, v2, v5
.LBB52_12:
	s_or_b64 exec, exec, s[6:7]
.LBB52_13:
	s_or_b64 exec, exec, s[0:1]
	v_cmp_lt_u32_e32 vcc, 3, v0
	s_barrier
	ds_write_b32 v4, v2
	;; [unrolled: 23-line block ×3, first 2 shown]
	s_waitcnt lgkmcnt(0)
	s_barrier
	s_and_saveexec_b64 s[0:1], vcc
	s_cbranch_execz .LBB52_21
; %bb.18:
	v_subrev_u32_e32 v5, 32, v1
	ds_read_b32 v5, v5
	s_waitcnt lgkmcnt(0)
	v_cmp_eq_u32_e32 vcc, v3, v5
	s_and_saveexec_b64 s[6:7], vcc
	s_cbranch_execz .LBB52_20
; %bb.19:
	v_subrev_u32_e32 v5, 32, v4
	ds_read_b32 v5, v5
	s_waitcnt lgkmcnt(0)
	v_add_f32_e32 v2, v2, v5
.LBB52_20:
	s_or_b64 exec, exec, s[6:7]
.LBB52_21:
	s_or_b64 exec, exec, s[0:1]
	v_cmp_lt_u32_e32 vcc, 15, v0
	s_barrier
	ds_write_b32 v4, v2
	s_waitcnt lgkmcnt(0)
	s_barrier
	s_and_saveexec_b64 s[0:1], vcc
	s_cbranch_execz .LBB52_25
; %bb.22:
	v_subrev_u32_e32 v5, 64, v1
	ds_read_b32 v5, v5
	s_waitcnt lgkmcnt(0)
	v_cmp_eq_u32_e32 vcc, v3, v5
	s_and_saveexec_b64 s[6:7], vcc
	s_cbranch_execz .LBB52_24
; %bb.23:
	v_subrev_u32_e32 v5, 64, v4
	ds_read_b32 v5, v5
	s_waitcnt lgkmcnt(0)
	v_add_f32_e32 v2, v2, v5
.LBB52_24:
	s_or_b64 exec, exec, s[6:7]
.LBB52_25:
	s_or_b64 exec, exec, s[0:1]
	v_cmp_lt_u32_e32 vcc, 31, v0
	s_barrier
	ds_write_b32 v4, v2
	s_waitcnt lgkmcnt(0)
	s_barrier
	s_and_saveexec_b64 s[0:1], vcc
	s_cbranch_execz .LBB52_29
; %bb.26:
	v_add_u32_e32 v5, 0xffffff80, v1
	ds_read_b32 v5, v5
	s_waitcnt lgkmcnt(0)
	v_cmp_eq_u32_e32 vcc, v3, v5
	s_and_saveexec_b64 s[6:7], vcc
	s_cbranch_execz .LBB52_28
; %bb.27:
	v_add_u32_e32 v5, 0xffffff80, v4
	ds_read_b32 v5, v5
	s_waitcnt lgkmcnt(0)
	v_add_f32_e32 v2, v2, v5
.LBB52_28:
	s_or_b64 exec, exec, s[6:7]
.LBB52_29:
	s_or_b64 exec, exec, s[0:1]
	v_cmp_lt_u32_e32 vcc, 63, v0
	s_barrier
	ds_write_b32 v4, v2
	s_waitcnt lgkmcnt(0)
	s_barrier
	s_and_saveexec_b64 s[0:1], vcc
	s_cbranch_execz .LBB52_33
; %bb.30:
	v_add_u32_e32 v5, 0xffffff00, v1
	ds_read_b32 v5, v5
	s_waitcnt lgkmcnt(0)
	v_cmp_eq_u32_e32 vcc, v3, v5
	s_and_saveexec_b64 s[6:7], vcc
	s_cbranch_execz .LBB52_32
; %bb.31:
	v_add_u32_e32 v5, 0xffffff00, v4
	ds_read_b32 v5, v5
	s_waitcnt lgkmcnt(0)
	v_add_f32_e32 v2, v2, v5
.LBB52_32:
	s_or_b64 exec, exec, s[6:7]
.LBB52_33:
	s_or_b64 exec, exec, s[0:1]
	s_load_dwordx2 s[4:5], s[4:5], 0x28
	s_movk_i32 s0, 0x7f
	v_cmp_lt_u32_e32 vcc, s0, v0
	s_waitcnt lgkmcnt(0)
	s_barrier
	ds_write_b32 v4, v2
	s_waitcnt lgkmcnt(0)
	s_barrier
	s_and_saveexec_b64 s[0:1], vcc
	s_cbranch_execz .LBB52_37
; %bb.34:
	v_add_u32_e32 v5, 0xfffffe00, v1
	ds_read_b32 v5, v5
	s_waitcnt lgkmcnt(0)
	v_cmp_eq_u32_e32 vcc, v3, v5
	s_and_saveexec_b64 s[6:7], vcc
	s_cbranch_execz .LBB52_36
; %bb.35:
	v_add_u32_e32 v5, 0xfffffe00, v4
	ds_read_b32 v5, v5
	s_waitcnt lgkmcnt(0)
	v_add_f32_e32 v2, v2, v5
.LBB52_36:
	s_or_b64 exec, exec, s[6:7]
.LBB52_37:
	s_or_b64 exec, exec, s[0:1]
	s_movk_i32 s3, 0xff
	v_cmp_gt_u32_e32 vcc, s3, v0
	s_barrier
	ds_write_b32 v4, v2
	s_waitcnt lgkmcnt(0)
	s_barrier
	s_and_saveexec_b64 s[6:7], vcc
	s_cbranch_execz .LBB52_41
; %bb.38:
	ds_read_b32 v1, v1 offset:4
	v_cmp_lt_i32_e64 s[0:1], -1, v3
	s_waitcnt lgkmcnt(0)
	v_cmp_ne_u32_e32 vcc, v3, v1
	s_and_b64 s[0:1], s[0:1], vcc
	s_and_b64 exec, exec, s[0:1]
	s_cbranch_execz .LBB52_41
; %bb.39:
	v_mov_b32_e32 v4, 0
	v_lshlrev_b64 v[4:5], 2, v[3:4]
	v_mov_b32_e32 v1, s5
	v_add_co_u32_e32 v4, vcc, s4, v4
	v_addc_co_u32_e32 v5, vcc, v1, v5, vcc
	global_load_dword v7, v[4:5], off
	v_mul_f32_e32 v1, s2, v2
	s_mov_b64 s[0:1], 0
.LBB52_40:                              ; =>This Inner Loop Header: Depth=1
	s_waitcnt vmcnt(0)
	v_add_f32_e32 v6, v7, v1
	global_atomic_cmpswap v6, v[4:5], v[6:7], off glc
	s_waitcnt vmcnt(0)
	v_cmp_eq_u32_e32 vcc, v6, v7
	s_or_b64 s[0:1], vcc, s[0:1]
	v_mov_b32_e32 v7, v6
	s_andn2_b64 exec, exec, s[0:1]
	s_cbranch_execnz .LBB52_40
.LBB52_41:
	s_or_b64 exec, exec, s[6:7]
	v_cmp_eq_u32_e32 vcc, s3, v0
	v_cmp_lt_i32_e64 s[0:1], -1, v3
	s_and_b64 s[0:1], vcc, s[0:1]
	s_and_saveexec_b64 s[6:7], s[0:1]
	s_cbranch_execz .LBB52_44
; %bb.42:
	v_mov_b32_e32 v4, 0
	v_lshlrev_b64 v[0:1], 2, v[3:4]
	v_mov_b32_e32 v3, s5
	v_add_co_u32_e32 v0, vcc, s4, v0
	v_addc_co_u32_e32 v1, vcc, v3, v1, vcc
	global_load_dword v3, v[0:1], off
	v_mul_f32_e32 v4, s2, v2
	s_mov_b64 s[0:1], 0
.LBB52_43:                              ; =>This Inner Loop Header: Depth=1
	s_waitcnt vmcnt(0)
	v_add_f32_e32 v2, v3, v4
	global_atomic_cmpswap v2, v[0:1], v[2:3], off glc
	s_waitcnt vmcnt(0)
	v_cmp_eq_u32_e32 vcc, v2, v3
	s_or_b64 s[0:1], vcc, s[0:1]
	v_mov_b32_e32 v3, v2
	s_andn2_b64 exec, exec, s[0:1]
	s_cbranch_execnz .LBB52_43
.LBB52_44:
	s_endpgm
	.section	.rodata,"a",@progbits
	.p2align	6, 0x0
	.amdhsa_kernel _ZN9rocsparseL23coomvn_aos_atomic_loopsILj256ELj1Ei18rocsparse_bfloat16S1_ffEEvlNS_24const_host_device_scalarIT5_EEPKT1_PKT2_PKT3_PT4_21rocsparse_index_base_b
		.amdhsa_group_segment_fixed_size 2048
		.amdhsa_private_segment_fixed_size 0
		.amdhsa_kernarg_size 56
		.amdhsa_user_sgpr_count 6
		.amdhsa_user_sgpr_private_segment_buffer 1
		.amdhsa_user_sgpr_dispatch_ptr 0
		.amdhsa_user_sgpr_queue_ptr 0
		.amdhsa_user_sgpr_kernarg_segment_ptr 1
		.amdhsa_user_sgpr_dispatch_id 0
		.amdhsa_user_sgpr_flat_scratch_init 0
		.amdhsa_user_sgpr_private_segment_size 0
		.amdhsa_uses_dynamic_stack 0
		.amdhsa_system_sgpr_private_segment_wavefront_offset 0
		.amdhsa_system_sgpr_workgroup_id_x 1
		.amdhsa_system_sgpr_workgroup_id_y 0
		.amdhsa_system_sgpr_workgroup_id_z 0
		.amdhsa_system_sgpr_workgroup_info 0
		.amdhsa_system_vgpr_workitem_id 0
		.amdhsa_next_free_vgpr 8
		.amdhsa_next_free_sgpr 16
		.amdhsa_reserve_vcc 1
		.amdhsa_reserve_flat_scratch 0
		.amdhsa_float_round_mode_32 0
		.amdhsa_float_round_mode_16_64 0
		.amdhsa_float_denorm_mode_32 3
		.amdhsa_float_denorm_mode_16_64 3
		.amdhsa_dx10_clamp 1
		.amdhsa_ieee_mode 1
		.amdhsa_fp16_overflow 0
		.amdhsa_exception_fp_ieee_invalid_op 0
		.amdhsa_exception_fp_denorm_src 0
		.amdhsa_exception_fp_ieee_div_zero 0
		.amdhsa_exception_fp_ieee_overflow 0
		.amdhsa_exception_fp_ieee_underflow 0
		.amdhsa_exception_fp_ieee_inexact 0
		.amdhsa_exception_int_div_zero 0
	.end_amdhsa_kernel
	.section	.text._ZN9rocsparseL23coomvn_aos_atomic_loopsILj256ELj1Ei18rocsparse_bfloat16S1_ffEEvlNS_24const_host_device_scalarIT5_EEPKT1_PKT2_PKT3_PT4_21rocsparse_index_base_b,"axG",@progbits,_ZN9rocsparseL23coomvn_aos_atomic_loopsILj256ELj1Ei18rocsparse_bfloat16S1_ffEEvlNS_24const_host_device_scalarIT5_EEPKT1_PKT2_PKT3_PT4_21rocsparse_index_base_b,comdat
.Lfunc_end52:
	.size	_ZN9rocsparseL23coomvn_aos_atomic_loopsILj256ELj1Ei18rocsparse_bfloat16S1_ffEEvlNS_24const_host_device_scalarIT5_EEPKT1_PKT2_PKT3_PT4_21rocsparse_index_base_b, .Lfunc_end52-_ZN9rocsparseL23coomvn_aos_atomic_loopsILj256ELj1Ei18rocsparse_bfloat16S1_ffEEvlNS_24const_host_device_scalarIT5_EEPKT1_PKT2_PKT3_PT4_21rocsparse_index_base_b
                                        ; -- End function
	.set _ZN9rocsparseL23coomvn_aos_atomic_loopsILj256ELj1Ei18rocsparse_bfloat16S1_ffEEvlNS_24const_host_device_scalarIT5_EEPKT1_PKT2_PKT3_PT4_21rocsparse_index_base_b.num_vgpr, 8
	.set _ZN9rocsparseL23coomvn_aos_atomic_loopsILj256ELj1Ei18rocsparse_bfloat16S1_ffEEvlNS_24const_host_device_scalarIT5_EEPKT1_PKT2_PKT3_PT4_21rocsparse_index_base_b.num_agpr, 0
	.set _ZN9rocsparseL23coomvn_aos_atomic_loopsILj256ELj1Ei18rocsparse_bfloat16S1_ffEEvlNS_24const_host_device_scalarIT5_EEPKT1_PKT2_PKT3_PT4_21rocsparse_index_base_b.numbered_sgpr, 16
	.set _ZN9rocsparseL23coomvn_aos_atomic_loopsILj256ELj1Ei18rocsparse_bfloat16S1_ffEEvlNS_24const_host_device_scalarIT5_EEPKT1_PKT2_PKT3_PT4_21rocsparse_index_base_b.num_named_barrier, 0
	.set _ZN9rocsparseL23coomvn_aos_atomic_loopsILj256ELj1Ei18rocsparse_bfloat16S1_ffEEvlNS_24const_host_device_scalarIT5_EEPKT1_PKT2_PKT3_PT4_21rocsparse_index_base_b.private_seg_size, 0
	.set _ZN9rocsparseL23coomvn_aos_atomic_loopsILj256ELj1Ei18rocsparse_bfloat16S1_ffEEvlNS_24const_host_device_scalarIT5_EEPKT1_PKT2_PKT3_PT4_21rocsparse_index_base_b.uses_vcc, 1
	.set _ZN9rocsparseL23coomvn_aos_atomic_loopsILj256ELj1Ei18rocsparse_bfloat16S1_ffEEvlNS_24const_host_device_scalarIT5_EEPKT1_PKT2_PKT3_PT4_21rocsparse_index_base_b.uses_flat_scratch, 0
	.set _ZN9rocsparseL23coomvn_aos_atomic_loopsILj256ELj1Ei18rocsparse_bfloat16S1_ffEEvlNS_24const_host_device_scalarIT5_EEPKT1_PKT2_PKT3_PT4_21rocsparse_index_base_b.has_dyn_sized_stack, 0
	.set _ZN9rocsparseL23coomvn_aos_atomic_loopsILj256ELj1Ei18rocsparse_bfloat16S1_ffEEvlNS_24const_host_device_scalarIT5_EEPKT1_PKT2_PKT3_PT4_21rocsparse_index_base_b.has_recursion, 0
	.set _ZN9rocsparseL23coomvn_aos_atomic_loopsILj256ELj1Ei18rocsparse_bfloat16S1_ffEEvlNS_24const_host_device_scalarIT5_EEPKT1_PKT2_PKT3_PT4_21rocsparse_index_base_b.has_indirect_call, 0
	.section	.AMDGPU.csdata,"",@progbits
; Kernel info:
; codeLenInByte = 1252
; TotalNumSgprs: 20
; NumVgprs: 8
; ScratchSize: 0
; MemoryBound: 0
; FloatMode: 240
; IeeeMode: 1
; LDSByteSize: 2048 bytes/workgroup (compile time only)
; SGPRBlocks: 2
; VGPRBlocks: 1
; NumSGPRsForWavesPerEU: 20
; NumVGPRsForWavesPerEU: 8
; Occupancy: 10
; WaveLimiterHint : 1
; COMPUTE_PGM_RSRC2:SCRATCH_EN: 0
; COMPUTE_PGM_RSRC2:USER_SGPR: 6
; COMPUTE_PGM_RSRC2:TRAP_HANDLER: 0
; COMPUTE_PGM_RSRC2:TGID_X_EN: 1
; COMPUTE_PGM_RSRC2:TGID_Y_EN: 0
; COMPUTE_PGM_RSRC2:TGID_Z_EN: 0
; COMPUTE_PGM_RSRC2:TIDIG_COMP_CNT: 0
	.section	.text._ZN9rocsparseL17coomvt_aos_kernelILj1024Ei18rocsparse_bfloat16S1_ffEEv20rocsparse_operation_lNS_24const_host_device_scalarIT4_EEPKT0_PKT1_PKT2_PT3_21rocsparse_index_base_b,"axG",@progbits,_ZN9rocsparseL17coomvt_aos_kernelILj1024Ei18rocsparse_bfloat16S1_ffEEv20rocsparse_operation_lNS_24const_host_device_scalarIT4_EEPKT0_PKT1_PKT2_PT3_21rocsparse_index_base_b,comdat
	.globl	_ZN9rocsparseL17coomvt_aos_kernelILj1024Ei18rocsparse_bfloat16S1_ffEEv20rocsparse_operation_lNS_24const_host_device_scalarIT4_EEPKT0_PKT1_PKT2_PT3_21rocsparse_index_base_b ; -- Begin function _ZN9rocsparseL17coomvt_aos_kernelILj1024Ei18rocsparse_bfloat16S1_ffEEv20rocsparse_operation_lNS_24const_host_device_scalarIT4_EEPKT0_PKT1_PKT2_PT3_21rocsparse_index_base_b
	.p2align	8
	.type	_ZN9rocsparseL17coomvt_aos_kernelILj1024Ei18rocsparse_bfloat16S1_ffEEv20rocsparse_operation_lNS_24const_host_device_scalarIT4_EEPKT0_PKT1_PKT2_PT3_21rocsparse_index_base_b,@function
_ZN9rocsparseL17coomvt_aos_kernelILj1024Ei18rocsparse_bfloat16S1_ffEEv20rocsparse_operation_lNS_24const_host_device_scalarIT4_EEPKT0_PKT1_PKT2_PT3_21rocsparse_index_base_b: ; @_ZN9rocsparseL17coomvt_aos_kernelILj1024Ei18rocsparse_bfloat16S1_ffEEv20rocsparse_operation_lNS_24const_host_device_scalarIT4_EEPKT0_PKT1_PKT2_PT3_21rocsparse_index_base_b
; %bb.0:
	s_load_dwordx2 s[16:17], s[4:5], 0x38
	s_load_dwordx4 s[0:3], s[4:5], 0x8
	s_waitcnt lgkmcnt(0)
	s_bitcmp1_b32 s17, 0
	s_cselect_b64 s[8:9], -1, 0
	s_and_b64 vcc, exec, s[8:9]
	s_cbranch_vccnz .LBB53_2
; %bb.1:
	s_load_dword s2, s[2:3], 0x0
.LBB53_2:
	s_waitcnt lgkmcnt(0)
	v_cmp_eq_f32_e64 s[8:9], s2, 0
	s_and_b64 vcc, exec, s[8:9]
	s_cbranch_vccnz .LBB53_6
; %bb.3:
	s_load_dword s3, s[4:5], 0x4c
	v_mov_b32_e32 v1, 0
	s_waitcnt lgkmcnt(0)
	s_and_b32 s3, s3, 0xffff
	s_mul_i32 s6, s6, s3
	v_add_u32_e32 v0, s6, v0
	v_cmp_gt_i64_e32 vcc, s[0:1], v[0:1]
	s_and_saveexec_b64 s[0:1], vcc
	s_cbranch_execz .LBB53_6
; %bb.4:
	s_load_dwordx8 s[8:15], s[4:5], 0x18
	v_lshlrev_b64 v[2:3], 3, v[0:1]
	v_lshlrev_b64 v[0:1], 1, v[0:1]
	s_mov_b64 s[0:1], 0
	s_waitcnt lgkmcnt(0)
	v_mov_b32_e32 v4, s9
	v_add_co_u32_e32 v2, vcc, s8, v2
	v_addc_co_u32_e32 v3, vcc, v4, v3, vcc
	global_load_dwordx2 v[2:3], v[2:3], off
	v_mov_b32_e32 v4, s11
	v_add_co_u32_e32 v0, vcc, s10, v0
	v_addc_co_u32_e32 v1, vcc, v4, v1, vcc
	global_load_ushort v4, v[0:1], off
	v_mov_b32_e32 v6, s13
	v_mov_b32_e32 v5, s15
	s_waitcnt vmcnt(1)
	v_subrev_u32_e32 v0, s16, v2
	v_ashrrev_i32_e32 v1, 31, v0
	v_subrev_u32_e32 v2, s16, v3
	v_lshlrev_b64 v[0:1], 1, v[0:1]
	v_ashrrev_i32_e32 v3, 31, v2
	v_lshlrev_b64 v[2:3], 2, v[2:3]
	v_add_co_u32_e32 v0, vcc, s12, v0
	v_addc_co_u32_e32 v1, vcc, v6, v1, vcc
	global_load_ushort v6, v[0:1], off
	v_add_co_u32_e32 v0, vcc, s14, v2
	v_addc_co_u32_e32 v1, vcc, v5, v3, vcc
	global_load_dword v3, v[0:1], off
	s_waitcnt vmcnt(2)
	v_lshlrev_b32_e32 v2, 16, v4
	v_mul_f32_e32 v2, s2, v2
	s_waitcnt vmcnt(1)
	v_lshlrev_b32_e32 v4, 16, v6
	v_mul_f32_e32 v4, v2, v4
.LBB53_5:                               ; =>This Inner Loop Header: Depth=1
	s_waitcnt vmcnt(0)
	v_add_f32_e32 v2, v3, v4
	global_atomic_cmpswap v2, v[0:1], v[2:3], off glc
	s_waitcnt vmcnt(0)
	v_cmp_eq_u32_e32 vcc, v2, v3
	s_or_b64 s[0:1], vcc, s[0:1]
	v_mov_b32_e32 v3, v2
	s_andn2_b64 exec, exec, s[0:1]
	s_cbranch_execnz .LBB53_5
.LBB53_6:
	s_endpgm
	.section	.rodata,"a",@progbits
	.p2align	6, 0x0
	.amdhsa_kernel _ZN9rocsparseL17coomvt_aos_kernelILj1024Ei18rocsparse_bfloat16S1_ffEEv20rocsparse_operation_lNS_24const_host_device_scalarIT4_EEPKT0_PKT1_PKT2_PT3_21rocsparse_index_base_b
		.amdhsa_group_segment_fixed_size 0
		.amdhsa_private_segment_fixed_size 0
		.amdhsa_kernarg_size 320
		.amdhsa_user_sgpr_count 6
		.amdhsa_user_sgpr_private_segment_buffer 1
		.amdhsa_user_sgpr_dispatch_ptr 0
		.amdhsa_user_sgpr_queue_ptr 0
		.amdhsa_user_sgpr_kernarg_segment_ptr 1
		.amdhsa_user_sgpr_dispatch_id 0
		.amdhsa_user_sgpr_flat_scratch_init 0
		.amdhsa_user_sgpr_private_segment_size 0
		.amdhsa_uses_dynamic_stack 0
		.amdhsa_system_sgpr_private_segment_wavefront_offset 0
		.amdhsa_system_sgpr_workgroup_id_x 1
		.amdhsa_system_sgpr_workgroup_id_y 0
		.amdhsa_system_sgpr_workgroup_id_z 0
		.amdhsa_system_sgpr_workgroup_info 0
		.amdhsa_system_vgpr_workitem_id 0
		.amdhsa_next_free_vgpr 7
		.amdhsa_next_free_sgpr 18
		.amdhsa_reserve_vcc 1
		.amdhsa_reserve_flat_scratch 0
		.amdhsa_float_round_mode_32 0
		.amdhsa_float_round_mode_16_64 0
		.amdhsa_float_denorm_mode_32 3
		.amdhsa_float_denorm_mode_16_64 3
		.amdhsa_dx10_clamp 1
		.amdhsa_ieee_mode 1
		.amdhsa_fp16_overflow 0
		.amdhsa_exception_fp_ieee_invalid_op 0
		.amdhsa_exception_fp_denorm_src 0
		.amdhsa_exception_fp_ieee_div_zero 0
		.amdhsa_exception_fp_ieee_overflow 0
		.amdhsa_exception_fp_ieee_underflow 0
		.amdhsa_exception_fp_ieee_inexact 0
		.amdhsa_exception_int_div_zero 0
	.end_amdhsa_kernel
	.section	.text._ZN9rocsparseL17coomvt_aos_kernelILj1024Ei18rocsparse_bfloat16S1_ffEEv20rocsparse_operation_lNS_24const_host_device_scalarIT4_EEPKT0_PKT1_PKT2_PT3_21rocsparse_index_base_b,"axG",@progbits,_ZN9rocsparseL17coomvt_aos_kernelILj1024Ei18rocsparse_bfloat16S1_ffEEv20rocsparse_operation_lNS_24const_host_device_scalarIT4_EEPKT0_PKT1_PKT2_PT3_21rocsparse_index_base_b,comdat
.Lfunc_end53:
	.size	_ZN9rocsparseL17coomvt_aos_kernelILj1024Ei18rocsparse_bfloat16S1_ffEEv20rocsparse_operation_lNS_24const_host_device_scalarIT4_EEPKT0_PKT1_PKT2_PT3_21rocsparse_index_base_b, .Lfunc_end53-_ZN9rocsparseL17coomvt_aos_kernelILj1024Ei18rocsparse_bfloat16S1_ffEEv20rocsparse_operation_lNS_24const_host_device_scalarIT4_EEPKT0_PKT1_PKT2_PT3_21rocsparse_index_base_b
                                        ; -- End function
	.set _ZN9rocsparseL17coomvt_aos_kernelILj1024Ei18rocsparse_bfloat16S1_ffEEv20rocsparse_operation_lNS_24const_host_device_scalarIT4_EEPKT0_PKT1_PKT2_PT3_21rocsparse_index_base_b.num_vgpr, 7
	.set _ZN9rocsparseL17coomvt_aos_kernelILj1024Ei18rocsparse_bfloat16S1_ffEEv20rocsparse_operation_lNS_24const_host_device_scalarIT4_EEPKT0_PKT1_PKT2_PT3_21rocsparse_index_base_b.num_agpr, 0
	.set _ZN9rocsparseL17coomvt_aos_kernelILj1024Ei18rocsparse_bfloat16S1_ffEEv20rocsparse_operation_lNS_24const_host_device_scalarIT4_EEPKT0_PKT1_PKT2_PT3_21rocsparse_index_base_b.numbered_sgpr, 18
	.set _ZN9rocsparseL17coomvt_aos_kernelILj1024Ei18rocsparse_bfloat16S1_ffEEv20rocsparse_operation_lNS_24const_host_device_scalarIT4_EEPKT0_PKT1_PKT2_PT3_21rocsparse_index_base_b.num_named_barrier, 0
	.set _ZN9rocsparseL17coomvt_aos_kernelILj1024Ei18rocsparse_bfloat16S1_ffEEv20rocsparse_operation_lNS_24const_host_device_scalarIT4_EEPKT0_PKT1_PKT2_PT3_21rocsparse_index_base_b.private_seg_size, 0
	.set _ZN9rocsparseL17coomvt_aos_kernelILj1024Ei18rocsparse_bfloat16S1_ffEEv20rocsparse_operation_lNS_24const_host_device_scalarIT4_EEPKT0_PKT1_PKT2_PT3_21rocsparse_index_base_b.uses_vcc, 1
	.set _ZN9rocsparseL17coomvt_aos_kernelILj1024Ei18rocsparse_bfloat16S1_ffEEv20rocsparse_operation_lNS_24const_host_device_scalarIT4_EEPKT0_PKT1_PKT2_PT3_21rocsparse_index_base_b.uses_flat_scratch, 0
	.set _ZN9rocsparseL17coomvt_aos_kernelILj1024Ei18rocsparse_bfloat16S1_ffEEv20rocsparse_operation_lNS_24const_host_device_scalarIT4_EEPKT0_PKT1_PKT2_PT3_21rocsparse_index_base_b.has_dyn_sized_stack, 0
	.set _ZN9rocsparseL17coomvt_aos_kernelILj1024Ei18rocsparse_bfloat16S1_ffEEv20rocsparse_operation_lNS_24const_host_device_scalarIT4_EEPKT0_PKT1_PKT2_PT3_21rocsparse_index_base_b.has_recursion, 0
	.set _ZN9rocsparseL17coomvt_aos_kernelILj1024Ei18rocsparse_bfloat16S1_ffEEv20rocsparse_operation_lNS_24const_host_device_scalarIT4_EEPKT0_PKT1_PKT2_PT3_21rocsparse_index_base_b.has_indirect_call, 0
	.section	.AMDGPU.csdata,"",@progbits
; Kernel info:
; codeLenInByte = 324
; TotalNumSgprs: 22
; NumVgprs: 7
; ScratchSize: 0
; MemoryBound: 0
; FloatMode: 240
; IeeeMode: 1
; LDSByteSize: 0 bytes/workgroup (compile time only)
; SGPRBlocks: 2
; VGPRBlocks: 1
; NumSGPRsForWavesPerEU: 22
; NumVGPRsForWavesPerEU: 7
; Occupancy: 10
; WaveLimiterHint : 1
; COMPUTE_PGM_RSRC2:SCRATCH_EN: 0
; COMPUTE_PGM_RSRC2:USER_SGPR: 6
; COMPUTE_PGM_RSRC2:TRAP_HANDLER: 0
; COMPUTE_PGM_RSRC2:TGID_X_EN: 1
; COMPUTE_PGM_RSRC2:TGID_Y_EN: 0
; COMPUTE_PGM_RSRC2:TGID_Z_EN: 0
; COMPUTE_PGM_RSRC2:TIDIG_COMP_CNT: 0
	.section	.text._ZN9rocsparseL26coomvn_aos_segmented_loopsILj256Ei18rocsparse_bfloat16S1_ffEEvlT0_NS_24const_host_device_scalarIT4_EEPKS2_PKT1_PKT2_PT3_PS2_PS4_21rocsparse_index_base_b,"axG",@progbits,_ZN9rocsparseL26coomvn_aos_segmented_loopsILj256Ei18rocsparse_bfloat16S1_ffEEvlT0_NS_24const_host_device_scalarIT4_EEPKS2_PKT1_PKT2_PT3_PS2_PS4_21rocsparse_index_base_b,comdat
	.globl	_ZN9rocsparseL26coomvn_aos_segmented_loopsILj256Ei18rocsparse_bfloat16S1_ffEEvlT0_NS_24const_host_device_scalarIT4_EEPKS2_PKT1_PKT2_PT3_PS2_PS4_21rocsparse_index_base_b ; -- Begin function _ZN9rocsparseL26coomvn_aos_segmented_loopsILj256Ei18rocsparse_bfloat16S1_ffEEvlT0_NS_24const_host_device_scalarIT4_EEPKS2_PKT1_PKT2_PT3_PS2_PS4_21rocsparse_index_base_b
	.p2align	8
	.type	_ZN9rocsparseL26coomvn_aos_segmented_loopsILj256Ei18rocsparse_bfloat16S1_ffEEvlT0_NS_24const_host_device_scalarIT4_EEPKS2_PKT1_PKT2_PT3_PS2_PS4_21rocsparse_index_base_b,@function
_ZN9rocsparseL26coomvn_aos_segmented_loopsILj256Ei18rocsparse_bfloat16S1_ffEEvlT0_NS_24const_host_device_scalarIT4_EEPKS2_PKT1_PKT2_PT3_PS2_PS4_21rocsparse_index_base_b: ; @_ZN9rocsparseL26coomvn_aos_segmented_loopsILj256Ei18rocsparse_bfloat16S1_ffEEvlT0_NS_24const_host_device_scalarIT4_EEPKS2_PKT1_PKT2_PT3_PS2_PS4_21rocsparse_index_base_b
; %bb.0:
	s_load_dwordx2 s[36:37], s[4:5], 0x48
	s_load_dwordx2 s[34:35], s[4:5], 0x10
	s_waitcnt lgkmcnt(0)
	s_bitcmp1_b32 s37, 0
	s_cselect_b64 s[0:1], -1, 0
	s_and_b64 vcc, exec, s[0:1]
	s_cbranch_vccnz .LBB54_2
; %bb.1:
	s_load_dword s34, s[34:35], 0x0
.LBB54_2:
	s_waitcnt lgkmcnt(0)
	v_cmp_eq_f32_e64 s[0:1], s34, 0
	s_and_b64 vcc, exec, s[0:1]
	s_cbranch_vccnz .LBB54_89
; %bb.3:
	s_load_dword s35, s[4:5], 0x8
	s_load_dwordx2 s[38:39], s[4:5], 0x0
	s_load_dwordx4 s[28:31], s[4:5], 0x18
	s_load_dwordx2 s[42:43], s[4:5], 0x28
	v_mov_b32_e32 v2, 0
	s_waitcnt lgkmcnt(0)
	s_mul_i32 s0, s6, s35
	v_lshl_or_b32 v1, s0, 8, v0
	v_cmp_gt_i64_e32 vcc, s[38:39], v[1:2]
	v_lshlrev_b64 v[5:6], 3, v[1:2]
	v_lshlrev_b64 v[7:8], 1, v[1:2]
	v_mov_b32_e32 v3, -1
	s_and_saveexec_b64 s[0:1], vcc
	s_cbranch_execz .LBB54_5
; %bb.4:
	v_mov_b32_e32 v3, s29
	v_add_co_u32_e32 v2, vcc, s28, v5
	v_addc_co_u32_e32 v3, vcc, v3, v6, vcc
	global_load_dwordx2 v[2:3], v[2:3], off glc slc
	v_mov_b32_e32 v4, s31
	v_add_co_u32_e32 v9, vcc, s30, v7
	v_addc_co_u32_e32 v10, vcc, v4, v8, vcc
	v_mov_b32_e32 v11, s43
	s_ashr_i32 s37, s36, 31
	s_lshl_b64 s[2:3], s[36:37], 1
	global_load_ushort v9, v[9:10], off
	v_mov_b32_e32 v10, s3
	s_waitcnt vmcnt(1)
	v_ashrrev_i32_e32 v4, 31, v3
	v_lshlrev_b64 v[3:4], 1, v[3:4]
	v_add_co_u32_e32 v3, vcc, s42, v3
	v_addc_co_u32_e32 v4, vcc, v11, v4, vcc
	v_subrev_co_u32_e32 v3, vcc, s2, v3
	v_subb_co_u32_e32 v4, vcc, v4, v10, vcc
	global_load_ushort v4, v[3:4], off
	v_subrev_u32_e32 v3, s36, v2
	s_waitcnt vmcnt(1)
	v_lshlrev_b32_e32 v2, 16, v9
	s_waitcnt vmcnt(0)
	v_lshlrev_b32_e32 v4, 16, v4
	v_mul_f32_e32 v2, v2, v4
.LBB54_5:
	s_or_b64 exec, exec, s[0:1]
	v_lshlrev_b32_e32 v11, 2, v0
	v_or_b32_e32 v12, 0x400, v11
	v_cmp_eq_u32_e64 s[0:1], 0, v0
	v_cmp_ne_u32_e64 s[2:3], 0, v0
	v_add_u32_e32 v13, -4, v11
	ds_write2st64_b32 v11, v3, v2 offset1:4
	s_waitcnt lgkmcnt(0)
	s_barrier
	s_and_saveexec_b64 s[8:9], s[2:3]
	s_cbranch_execz .LBB54_9
; %bb.6:
	ds_read_b32 v4, v13
	s_waitcnt lgkmcnt(0)
	v_cmp_eq_u32_e32 vcc, v3, v4
	s_and_saveexec_b64 s[10:11], vcc
	s_cbranch_execz .LBB54_8
; %bb.7:
	v_add_u32_e32 v4, -4, v12
	ds_read_b32 v4, v4
	s_waitcnt lgkmcnt(0)
	v_add_f32_e32 v2, v2, v4
.LBB54_8:
	s_or_b64 exec, exec, s[10:11]
.LBB54_9:
	s_or_b64 exec, exec, s[8:9]
	v_cmp_lt_u32_e64 s[22:23], 1, v0
	v_add_u32_e32 v14, -8, v11
	s_barrier
	ds_write_b32 v12, v2
	s_waitcnt lgkmcnt(0)
	s_barrier
	s_and_saveexec_b64 s[8:9], s[22:23]
	s_cbranch_execz .LBB54_13
; %bb.10:
	ds_read_b32 v4, v14
	s_waitcnt lgkmcnt(0)
	v_cmp_eq_u32_e32 vcc, v3, v4
	s_and_saveexec_b64 s[10:11], vcc
	s_cbranch_execz .LBB54_12
; %bb.11:
	v_add_u32_e32 v4, -8, v12
	ds_read_b32 v4, v4
	s_waitcnt lgkmcnt(0)
	v_add_f32_e32 v2, v2, v4
.LBB54_12:
	s_or_b64 exec, exec, s[10:11]
.LBB54_13:
	s_or_b64 exec, exec, s[8:9]
	v_cmp_lt_u32_e64 s[8:9], 3, v0
	v_add_u32_e32 v15, -16, v11
	s_barrier
	ds_write_b32 v12, v2
	s_waitcnt lgkmcnt(0)
	s_barrier
	s_and_saveexec_b64 s[10:11], s[8:9]
	s_cbranch_execz .LBB54_17
; %bb.14:
	ds_read_b32 v4, v15
	s_waitcnt lgkmcnt(0)
	v_cmp_eq_u32_e32 vcc, v3, v4
	s_and_saveexec_b64 s[12:13], vcc
	s_cbranch_execz .LBB54_16
; %bb.15:
	v_add_u32_e32 v4, -16, v12
	ds_read_b32 v4, v4
	s_waitcnt lgkmcnt(0)
	v_add_f32_e32 v2, v2, v4
.LBB54_16:
	s_or_b64 exec, exec, s[12:13]
.LBB54_17:
	s_or_b64 exec, exec, s[10:11]
	v_cmp_lt_u32_e64 s[10:11], 7, v0
	v_subrev_u32_e32 v16, 32, v11
	s_barrier
	ds_write_b32 v12, v2
	s_waitcnt lgkmcnt(0)
	s_barrier
	s_and_saveexec_b64 s[12:13], s[10:11]
	s_cbranch_execz .LBB54_21
; %bb.18:
	ds_read_b32 v4, v16
	s_waitcnt lgkmcnt(0)
	v_cmp_eq_u32_e32 vcc, v3, v4
	s_and_saveexec_b64 s[14:15], vcc
	s_cbranch_execz .LBB54_20
; %bb.19:
	v_subrev_u32_e32 v4, 32, v12
	ds_read_b32 v4, v4
	s_waitcnt lgkmcnt(0)
	v_add_f32_e32 v2, v2, v4
.LBB54_20:
	s_or_b64 exec, exec, s[14:15]
.LBB54_21:
	s_or_b64 exec, exec, s[12:13]
	v_cmp_lt_u32_e64 s[12:13], 15, v0
	v_subrev_u32_e32 v17, 64, v11
	s_barrier
	ds_write_b32 v12, v2
	s_waitcnt lgkmcnt(0)
	s_barrier
	s_and_saveexec_b64 s[14:15], s[12:13]
	s_cbranch_execz .LBB54_25
; %bb.22:
	ds_read_b32 v4, v17
	s_waitcnt lgkmcnt(0)
	v_cmp_eq_u32_e32 vcc, v3, v4
	s_and_saveexec_b64 s[16:17], vcc
	s_cbranch_execz .LBB54_24
; %bb.23:
	v_subrev_u32_e32 v4, 64, v12
	ds_read_b32 v4, v4
	s_waitcnt lgkmcnt(0)
	v_add_f32_e32 v2, v2, v4
.LBB54_24:
	s_or_b64 exec, exec, s[16:17]
.LBB54_25:
	s_or_b64 exec, exec, s[14:15]
	v_cmp_lt_u32_e64 s[14:15], 31, v0
	s_barrier
	ds_write_b32 v12, v2
	s_waitcnt lgkmcnt(0)
	s_barrier
	s_and_saveexec_b64 s[16:17], s[14:15]
	s_cbranch_execz .LBB54_29
; %bb.26:
	v_add_u32_e32 v4, 0xffffff80, v11
	ds_read_b32 v4, v4
	s_waitcnt lgkmcnt(0)
	v_cmp_eq_u32_e32 vcc, v3, v4
	s_and_saveexec_b64 s[18:19], vcc
	s_cbranch_execz .LBB54_28
; %bb.27:
	v_add_u32_e32 v4, 0xffffff80, v12
	ds_read_b32 v4, v4
	s_waitcnt lgkmcnt(0)
	v_add_f32_e32 v2, v2, v4
.LBB54_28:
	s_or_b64 exec, exec, s[18:19]
.LBB54_29:
	s_or_b64 exec, exec, s[16:17]
	v_cmp_lt_u32_e64 s[16:17], 63, v0
	s_barrier
	ds_write_b32 v12, v2
	s_waitcnt lgkmcnt(0)
	s_barrier
	s_and_saveexec_b64 s[18:19], s[16:17]
	s_cbranch_execz .LBB54_33
; %bb.30:
	v_add_u32_e32 v4, 0xffffff00, v11
	ds_read_b32 v4, v4
	s_waitcnt lgkmcnt(0)
	v_cmp_eq_u32_e32 vcc, v3, v4
	s_and_saveexec_b64 s[20:21], vcc
	s_cbranch_execz .LBB54_32
; %bb.31:
	v_add_u32_e32 v4, 0xffffff00, v12
	ds_read_b32 v4, v4
	s_waitcnt lgkmcnt(0)
	v_add_f32_e32 v2, v2, v4
.LBB54_32:
	s_or_b64 exec, exec, s[20:21]
.LBB54_33:
	s_or_b64 exec, exec, s[18:19]
	s_load_dwordx2 s[40:41], s[4:5], 0x30
	s_movk_i32 s7, 0x7f
	v_cmp_lt_u32_e64 s[18:19], s7, v0
	s_waitcnt lgkmcnt(0)
	s_barrier
	ds_write_b32 v12, v2
	s_waitcnt lgkmcnt(0)
	s_barrier
	s_and_saveexec_b64 s[20:21], s[18:19]
	s_cbranch_execz .LBB54_37
; %bb.34:
	v_add_u32_e32 v4, 0xfffffe00, v11
	ds_read_b32 v4, v4
	s_waitcnt lgkmcnt(0)
	v_cmp_eq_u32_e32 vcc, v3, v4
	s_and_saveexec_b64 s[24:25], vcc
	s_cbranch_execz .LBB54_36
; %bb.35:
	v_add_u32_e32 v4, 0xfffffe00, v12
	ds_read_b32 v4, v4
	s_waitcnt lgkmcnt(0)
	v_add_f32_e32 v2, v2, v4
.LBB54_36:
	s_or_b64 exec, exec, s[24:25]
.LBB54_37:
	s_or_b64 exec, exec, s[20:21]
	s_movk_i32 s7, 0xff
	v_cmp_gt_u32_e64 s[20:21], s7, v0
	s_barrier
	ds_write_b32 v12, v2
	s_waitcnt lgkmcnt(0)
	s_barrier
	s_and_saveexec_b64 s[26:27], s[20:21]
	s_cbranch_execz .LBB54_40
; %bb.38:
	ds_read_b32 v4, v11 offset:4
	v_cmp_lt_i32_e64 s[24:25], -1, v3
	s_waitcnt lgkmcnt(0)
	v_cmp_ne_u32_e32 vcc, v3, v4
	s_and_b64 s[24:25], s[24:25], vcc
	s_and_b64 exec, exec, s[24:25]
	s_cbranch_execz .LBB54_40
; %bb.39:
	v_mov_b32_e32 v4, 0
	v_lshlrev_b64 v[9:10], 2, v[3:4]
	v_mov_b32_e32 v4, s41
	v_add_co_u32_e32 v9, vcc, s40, v9
	v_addc_co_u32_e32 v10, vcc, v4, v10, vcc
	global_load_dword v4, v[9:10], off
	s_waitcnt vmcnt(0)
	v_fmac_f32_e32 v4, s34, v2
	global_store_dword v[9:10], v4, off
.LBB54_40:
	s_or_b64 exec, exec, s[26:27]
	s_load_dwordx4 s[24:27], s[4:5], 0x38
	s_cmp_lt_i32 s35, 2
	s_cbranch_scc1 .LBB54_87
; %bb.41:
	v_mov_b32_e32 v2, s31
	v_add_co_u32_e32 v3, vcc, s30, v7
	s_ashr_i32 s37, s36, 31
	v_addc_co_u32_e32 v2, vcc, v2, v8, vcc
	s_lshl_b64 s[4:5], s[36:37], 1
	v_mov_b32_e32 v4, s29
	v_add_co_u32_e32 v7, vcc, s28, v5
	s_sub_u32 s7, s42, s4
	v_addc_co_u32_e32 v4, vcc, v4, v6, vcc
	s_movk_i32 s4, 0x200
	v_add_co_u32_e32 v5, vcc, s4, v3
	v_addc_co_u32_e32 v6, vcc, 0, v2, vcc
	s_movk_i32 s4, 0x800
	v_add_co_u32_e32 v7, vcc, s4, v7
	;; [unrolled: 3-line block ×3, first 2 shown]
	s_subb_u32 s33, s43, s5
	v_add_u32_e32 v18, -8, v12
	v_add_u32_e32 v19, -16, v12
	v_subrev_u32_e32 v20, 32, v12
	v_subrev_u32_e32 v21, 64, v12
	v_add_u32_e32 v22, 0xffffff80, v11
	v_add_u32_e32 v23, 0xffffff80, v12
	;; [unrolled: 1-line block ×6, first 2 shown]
	v_addc_co_u32_e64 v10, s[4:5], 0, 0, vcc
	s_add_i32 s35, s35, -1
	s_mov_b32 s29, 0
	v_mov_b32_e32 v4, 0
	s_branch .LBB54_43
.LBB54_42:                              ;   in Loop: Header=BB54_43 Depth=1
	s_or_b64 exec, exec, s[30:31]
	v_add_co_u32_e32 v5, vcc, 0x200, v5
	v_addc_co_u32_e32 v6, vcc, 0, v6, vcc
	v_add_co_u32_e32 v7, vcc, 0x800, v7
	v_addc_co_u32_e32 v8, vcc, 0, v8, vcc
	v_add_co_u32_e32 v9, vcc, 0x100, v9
	s_add_i32 s35, s35, -1
	s_cmp_eq_u32 s35, 0
	v_addc_co_u32_e32 v10, vcc, 0, v10, vcc
	s_cbranch_scc1 .LBB54_87
.LBB54_43:                              ; =>This Inner Loop Header: Depth=1
	v_cmp_gt_i64_e32 vcc, s[38:39], v[9:10]
	v_mov_b32_e32 v3, -1
	v_mov_b32_e32 v2, 0
	s_and_saveexec_b64 s[4:5], vcc
	s_cbranch_execz .LBB54_45
; %bb.44:                               ;   in Loop: Header=BB54_43 Depth=1
	global_load_dwordx2 v[1:2], v[7:8], off glc slc
	global_load_ushort v28, v[5:6], off
	v_mov_b32_e32 v29, s33
	s_waitcnt vmcnt(1)
	v_ashrrev_i32_e32 v3, 31, v2
	v_lshlrev_b64 v[2:3], 1, v[2:3]
	v_add_co_u32_e32 v2, vcc, s7, v2
	v_addc_co_u32_e32 v3, vcc, v29, v3, vcc
	global_load_ushort v2, v[2:3], off
	v_subrev_u32_e32 v3, s36, v1
	s_waitcnt vmcnt(1)
	v_lshlrev_b32_e32 v1, 16, v28
	s_waitcnt vmcnt(0)
	v_lshlrev_b32_e32 v2, 16, v2
	v_mul_f32_e32 v2, v1, v2
.LBB54_45:                              ;   in Loop: Header=BB54_43 Depth=1
	s_or_b64 exec, exec, s[4:5]
	s_and_saveexec_b64 s[4:5], s[0:1]
	s_cbranch_execz .LBB54_52
; %bb.46:                               ;   in Loop: Header=BB54_43 Depth=1
	ds_read_b32 v1, v4 offset:1020
	s_waitcnt lgkmcnt(0)
	v_readfirstlane_b32 s28, v1
	v_cmp_ne_u32_e32 vcc, v3, v1
	s_and_saveexec_b64 s[30:31], vcc
	s_xor_b64 s[30:31], exec, s[30:31]
	s_cbranch_execz .LBB54_49
; %bb.47:                               ;   in Loop: Header=BB54_43 Depth=1
	s_cmp_lt_i32 s28, 0
	s_cbranch_scc1 .LBB54_49
; %bb.48:                               ;   in Loop: Header=BB54_43 Depth=1
	s_lshl_b64 s[42:43], s[28:29], 2
	s_add_u32 s42, s40, s42
	s_addc_u32 s43, s41, s43
	global_load_dword v1, v4, s[42:43]
	ds_read_b32 v28, v4 offset:2044
	s_waitcnt vmcnt(0) lgkmcnt(0)
	v_fmac_f32_e32 v1, s34, v28
	global_store_dword v4, v1, s[42:43]
.LBB54_49:                              ;   in Loop: Header=BB54_43 Depth=1
	s_andn2_saveexec_b64 s[30:31], s[30:31]
	s_cbranch_execz .LBB54_51
; %bb.50:                               ;   in Loop: Header=BB54_43 Depth=1
	ds_read_b32 v1, v4 offset:2044
	s_waitcnt lgkmcnt(0)
	v_add_f32_e32 v2, v2, v1
.LBB54_51:                              ;   in Loop: Header=BB54_43 Depth=1
	s_or_b64 exec, exec, s[30:31]
.LBB54_52:                              ;   in Loop: Header=BB54_43 Depth=1
	s_or_b64 exec, exec, s[4:5]
	s_waitcnt vmcnt(0) lgkmcnt(0)
	s_barrier
	ds_write_b32 v11, v3
	ds_write_b32 v12, v2
	s_waitcnt lgkmcnt(0)
	s_barrier
	s_and_saveexec_b64 s[4:5], s[2:3]
	s_cbranch_execz .LBB54_56
; %bb.53:                               ;   in Loop: Header=BB54_43 Depth=1
	ds_read_b32 v1, v13
	s_waitcnt lgkmcnt(0)
	v_cmp_eq_u32_e32 vcc, v3, v1
	s_and_saveexec_b64 s[30:31], vcc
	s_cbranch_execz .LBB54_55
; %bb.54:                               ;   in Loop: Header=BB54_43 Depth=1
	v_add_u32_e32 v1, -4, v12
	ds_read_b32 v1, v1
	s_waitcnt lgkmcnt(0)
	v_add_f32_e32 v2, v2, v1
.LBB54_55:                              ;   in Loop: Header=BB54_43 Depth=1
	s_or_b64 exec, exec, s[30:31]
.LBB54_56:                              ;   in Loop: Header=BB54_43 Depth=1
	s_or_b64 exec, exec, s[4:5]
	s_barrier
	ds_write_b32 v12, v2
	s_waitcnt lgkmcnt(0)
	s_barrier
	s_and_saveexec_b64 s[4:5], s[22:23]
	s_cbranch_execz .LBB54_60
; %bb.57:                               ;   in Loop: Header=BB54_43 Depth=1
	ds_read_b32 v1, v14
	s_waitcnt lgkmcnt(0)
	v_cmp_eq_u32_e32 vcc, v3, v1
	s_and_saveexec_b64 s[30:31], vcc
	s_cbranch_execz .LBB54_59
; %bb.58:                               ;   in Loop: Header=BB54_43 Depth=1
	ds_read_b32 v1, v18
	s_waitcnt lgkmcnt(0)
	v_add_f32_e32 v2, v2, v1
.LBB54_59:                              ;   in Loop: Header=BB54_43 Depth=1
	s_or_b64 exec, exec, s[30:31]
.LBB54_60:                              ;   in Loop: Header=BB54_43 Depth=1
	s_or_b64 exec, exec, s[4:5]
	s_barrier
	ds_write_b32 v12, v2
	s_waitcnt lgkmcnt(0)
	s_barrier
	s_and_saveexec_b64 s[4:5], s[8:9]
	s_cbranch_execz .LBB54_64
; %bb.61:                               ;   in Loop: Header=BB54_43 Depth=1
	ds_read_b32 v1, v15
	s_waitcnt lgkmcnt(0)
	v_cmp_eq_u32_e32 vcc, v3, v1
	s_and_saveexec_b64 s[30:31], vcc
	s_cbranch_execz .LBB54_63
; %bb.62:                               ;   in Loop: Header=BB54_43 Depth=1
	ds_read_b32 v1, v19
	s_waitcnt lgkmcnt(0)
	v_add_f32_e32 v2, v2, v1
.LBB54_63:                              ;   in Loop: Header=BB54_43 Depth=1
	s_or_b64 exec, exec, s[30:31]
.LBB54_64:                              ;   in Loop: Header=BB54_43 Depth=1
	;; [unrolled: 20-line block ×7, first 2 shown]
	s_or_b64 exec, exec, s[4:5]
	s_barrier
	ds_write_b32 v12, v2
	s_waitcnt lgkmcnt(0)
	s_barrier
	s_and_saveexec_b64 s[30:31], s[20:21]
	s_cbranch_execz .LBB54_42
; %bb.85:                               ;   in Loop: Header=BB54_43 Depth=1
	ds_read_b32 v1, v11 offset:4
	v_cmp_lt_i32_e64 s[4:5], -1, v3
	s_waitcnt lgkmcnt(0)
	v_cmp_ne_u32_e32 vcc, v3, v1
	s_and_b64 s[4:5], s[4:5], vcc
	s_and_b64 exec, exec, s[4:5]
	s_cbranch_execz .LBB54_42
; %bb.86:                               ;   in Loop: Header=BB54_43 Depth=1
	v_lshlrev_b64 v[28:29], 2, v[3:4]
	v_mov_b32_e32 v1, s41
	v_add_co_u32_e32 v28, vcc, s40, v28
	v_addc_co_u32_e32 v29, vcc, v1, v29, vcc
	global_load_dword v1, v[28:29], off
	s_waitcnt vmcnt(0)
	v_fmac_f32_e32 v1, s34, v2
	global_store_dword v[28:29], v1, off
	s_branch .LBB54_42
.LBB54_87:
	s_movk_i32 s0, 0xff
	v_cmp_eq_u32_e32 vcc, s0, v0
	s_and_saveexec_b64 s[0:1], vcc
	s_cbranch_execz .LBB54_89
; %bb.88:
	s_mov_b32 s7, 0
	s_lshl_b64 s[0:1], s[6:7], 2
	s_waitcnt lgkmcnt(0)
	s_add_u32 s2, s24, s0
	s_addc_u32 s3, s25, s1
	v_mov_b32_e32 v0, 0
	s_add_u32 s0, s26, s0
	v_mul_f32_e32 v1, s34, v2
	s_addc_u32 s1, s27, s1
	global_store_dword v0, v3, s[2:3] glc slc
	global_store_dword v0, v1, s[0:1] glc slc
.LBB54_89:
	s_endpgm
	.section	.rodata,"a",@progbits
	.p2align	6, 0x0
	.amdhsa_kernel _ZN9rocsparseL26coomvn_aos_segmented_loopsILj256Ei18rocsparse_bfloat16S1_ffEEvlT0_NS_24const_host_device_scalarIT4_EEPKS2_PKT1_PKT2_PT3_PS2_PS4_21rocsparse_index_base_b
		.amdhsa_group_segment_fixed_size 2048
		.amdhsa_private_segment_fixed_size 0
		.amdhsa_kernarg_size 80
		.amdhsa_user_sgpr_count 6
		.amdhsa_user_sgpr_private_segment_buffer 1
		.amdhsa_user_sgpr_dispatch_ptr 0
		.amdhsa_user_sgpr_queue_ptr 0
		.amdhsa_user_sgpr_kernarg_segment_ptr 1
		.amdhsa_user_sgpr_dispatch_id 0
		.amdhsa_user_sgpr_flat_scratch_init 0
		.amdhsa_user_sgpr_private_segment_size 0
		.amdhsa_uses_dynamic_stack 0
		.amdhsa_system_sgpr_private_segment_wavefront_offset 0
		.amdhsa_system_sgpr_workgroup_id_x 1
		.amdhsa_system_sgpr_workgroup_id_y 0
		.amdhsa_system_sgpr_workgroup_id_z 0
		.amdhsa_system_sgpr_workgroup_info 0
		.amdhsa_system_vgpr_workitem_id 0
		.amdhsa_next_free_vgpr 30
		.amdhsa_next_free_sgpr 44
		.amdhsa_reserve_vcc 1
		.amdhsa_reserve_flat_scratch 0
		.amdhsa_float_round_mode_32 0
		.amdhsa_float_round_mode_16_64 0
		.amdhsa_float_denorm_mode_32 3
		.amdhsa_float_denorm_mode_16_64 3
		.amdhsa_dx10_clamp 1
		.amdhsa_ieee_mode 1
		.amdhsa_fp16_overflow 0
		.amdhsa_exception_fp_ieee_invalid_op 0
		.amdhsa_exception_fp_denorm_src 0
		.amdhsa_exception_fp_ieee_div_zero 0
		.amdhsa_exception_fp_ieee_overflow 0
		.amdhsa_exception_fp_ieee_underflow 0
		.amdhsa_exception_fp_ieee_inexact 0
		.amdhsa_exception_int_div_zero 0
	.end_amdhsa_kernel
	.section	.text._ZN9rocsparseL26coomvn_aos_segmented_loopsILj256Ei18rocsparse_bfloat16S1_ffEEvlT0_NS_24const_host_device_scalarIT4_EEPKS2_PKT1_PKT2_PT3_PS2_PS4_21rocsparse_index_base_b,"axG",@progbits,_ZN9rocsparseL26coomvn_aos_segmented_loopsILj256Ei18rocsparse_bfloat16S1_ffEEvlT0_NS_24const_host_device_scalarIT4_EEPKS2_PKT1_PKT2_PT3_PS2_PS4_21rocsparse_index_base_b,comdat
.Lfunc_end54:
	.size	_ZN9rocsparseL26coomvn_aos_segmented_loopsILj256Ei18rocsparse_bfloat16S1_ffEEvlT0_NS_24const_host_device_scalarIT4_EEPKS2_PKT1_PKT2_PT3_PS2_PS4_21rocsparse_index_base_b, .Lfunc_end54-_ZN9rocsparseL26coomvn_aos_segmented_loopsILj256Ei18rocsparse_bfloat16S1_ffEEvlT0_NS_24const_host_device_scalarIT4_EEPKS2_PKT1_PKT2_PT3_PS2_PS4_21rocsparse_index_base_b
                                        ; -- End function
	.set _ZN9rocsparseL26coomvn_aos_segmented_loopsILj256Ei18rocsparse_bfloat16S1_ffEEvlT0_NS_24const_host_device_scalarIT4_EEPKS2_PKT1_PKT2_PT3_PS2_PS4_21rocsparse_index_base_b.num_vgpr, 30
	.set _ZN9rocsparseL26coomvn_aos_segmented_loopsILj256Ei18rocsparse_bfloat16S1_ffEEvlT0_NS_24const_host_device_scalarIT4_EEPKS2_PKT1_PKT2_PT3_PS2_PS4_21rocsparse_index_base_b.num_agpr, 0
	.set _ZN9rocsparseL26coomvn_aos_segmented_loopsILj256Ei18rocsparse_bfloat16S1_ffEEvlT0_NS_24const_host_device_scalarIT4_EEPKS2_PKT1_PKT2_PT3_PS2_PS4_21rocsparse_index_base_b.numbered_sgpr, 44
	.set _ZN9rocsparseL26coomvn_aos_segmented_loopsILj256Ei18rocsparse_bfloat16S1_ffEEvlT0_NS_24const_host_device_scalarIT4_EEPKS2_PKT1_PKT2_PT3_PS2_PS4_21rocsparse_index_base_b.num_named_barrier, 0
	.set _ZN9rocsparseL26coomvn_aos_segmented_loopsILj256Ei18rocsparse_bfloat16S1_ffEEvlT0_NS_24const_host_device_scalarIT4_EEPKS2_PKT1_PKT2_PT3_PS2_PS4_21rocsparse_index_base_b.private_seg_size, 0
	.set _ZN9rocsparseL26coomvn_aos_segmented_loopsILj256Ei18rocsparse_bfloat16S1_ffEEvlT0_NS_24const_host_device_scalarIT4_EEPKS2_PKT1_PKT2_PT3_PS2_PS4_21rocsparse_index_base_b.uses_vcc, 1
	.set _ZN9rocsparseL26coomvn_aos_segmented_loopsILj256Ei18rocsparse_bfloat16S1_ffEEvlT0_NS_24const_host_device_scalarIT4_EEPKS2_PKT1_PKT2_PT3_PS2_PS4_21rocsparse_index_base_b.uses_flat_scratch, 0
	.set _ZN9rocsparseL26coomvn_aos_segmented_loopsILj256Ei18rocsparse_bfloat16S1_ffEEvlT0_NS_24const_host_device_scalarIT4_EEPKS2_PKT1_PKT2_PT3_PS2_PS4_21rocsparse_index_base_b.has_dyn_sized_stack, 0
	.set _ZN9rocsparseL26coomvn_aos_segmented_loopsILj256Ei18rocsparse_bfloat16S1_ffEEvlT0_NS_24const_host_device_scalarIT4_EEPKS2_PKT1_PKT2_PT3_PS2_PS4_21rocsparse_index_base_b.has_recursion, 0
	.set _ZN9rocsparseL26coomvn_aos_segmented_loopsILj256Ei18rocsparse_bfloat16S1_ffEEvlT0_NS_24const_host_device_scalarIT4_EEPKS2_PKT1_PKT2_PT3_PS2_PS4_21rocsparse_index_base_b.has_indirect_call, 0
	.section	.AMDGPU.csdata,"",@progbits
; Kernel info:
; codeLenInByte = 2452
; TotalNumSgprs: 48
; NumVgprs: 30
; ScratchSize: 0
; MemoryBound: 0
; FloatMode: 240
; IeeeMode: 1
; LDSByteSize: 2048 bytes/workgroup (compile time only)
; SGPRBlocks: 5
; VGPRBlocks: 7
; NumSGPRsForWavesPerEU: 48
; NumVGPRsForWavesPerEU: 30
; Occupancy: 8
; WaveLimiterHint : 1
; COMPUTE_PGM_RSRC2:SCRATCH_EN: 0
; COMPUTE_PGM_RSRC2:USER_SGPR: 6
; COMPUTE_PGM_RSRC2:TRAP_HANDLER: 0
; COMPUTE_PGM_RSRC2:TGID_X_EN: 1
; COMPUTE_PGM_RSRC2:TGID_Y_EN: 0
; COMPUTE_PGM_RSRC2:TGID_Z_EN: 0
; COMPUTE_PGM_RSRC2:TIDIG_COMP_CNT: 0
	.section	.text._ZN9rocsparseL23coomvn_aos_atomic_loopsILj256ELj1El18rocsparse_bfloat16S1_ffEEvlNS_24const_host_device_scalarIT5_EEPKT1_PKT2_PKT3_PT4_21rocsparse_index_base_b,"axG",@progbits,_ZN9rocsparseL23coomvn_aos_atomic_loopsILj256ELj1El18rocsparse_bfloat16S1_ffEEvlNS_24const_host_device_scalarIT5_EEPKT1_PKT2_PKT3_PT4_21rocsparse_index_base_b,comdat
	.globl	_ZN9rocsparseL23coomvn_aos_atomic_loopsILj256ELj1El18rocsparse_bfloat16S1_ffEEvlNS_24const_host_device_scalarIT5_EEPKT1_PKT2_PKT3_PT4_21rocsparse_index_base_b ; -- Begin function _ZN9rocsparseL23coomvn_aos_atomic_loopsILj256ELj1El18rocsparse_bfloat16S1_ffEEvlNS_24const_host_device_scalarIT5_EEPKT1_PKT2_PKT3_PT4_21rocsparse_index_base_b
	.p2align	8
	.type	_ZN9rocsparseL23coomvn_aos_atomic_loopsILj256ELj1El18rocsparse_bfloat16S1_ffEEvlNS_24const_host_device_scalarIT5_EEPKT1_PKT2_PKT3_PT4_21rocsparse_index_base_b,@function
_ZN9rocsparseL23coomvn_aos_atomic_loopsILj256ELj1El18rocsparse_bfloat16S1_ffEEvlNS_24const_host_device_scalarIT5_EEPKT1_PKT2_PKT3_PT4_21rocsparse_index_base_b: ; @_ZN9rocsparseL23coomvn_aos_atomic_loopsILj256ELj1El18rocsparse_bfloat16S1_ffEEvlNS_24const_host_device_scalarIT5_EEPKT1_PKT2_PKT3_PT4_21rocsparse_index_base_b
; %bb.0:
	s_load_dwordx2 s[8:9], s[4:5], 0x30
	s_load_dwordx4 s[0:3], s[4:5], 0x0
	s_waitcnt lgkmcnt(0)
	s_bitcmp1_b32 s9, 0
	s_cselect_b64 s[10:11], -1, 0
	s_and_b64 vcc, exec, s[10:11]
	s_cbranch_vccnz .LBB55_2
; %bb.1:
	s_load_dword s2, s[2:3], 0x0
.LBB55_2:
	s_waitcnt lgkmcnt(0)
	v_cmp_eq_f32_e64 s[10:11], s2, 0
	s_and_b64 vcc, exec, s[10:11]
	s_cbranch_vccnz .LBB55_44
; %bb.3:
	v_lshl_or_b32 v1, s6, 8, v0
	v_mov_b32_e32 v2, 0
	v_cmp_gt_i64_e32 vcc, s[0:1], v[1:2]
	v_mov_b32_e32 v3, -1
	v_mov_b32_e32 v4, -1
	s_and_saveexec_b64 s[0:1], vcc
	s_cbranch_execz .LBB55_5
; %bb.4:
	s_load_dwordx4 s[12:15], s[4:5], 0x10
	s_load_dwordx2 s[6:7], s[4:5], 0x20
	v_lshlrev_b64 v[3:4], 4, v[1:2]
	v_lshlrev_b64 v[1:2], 1, v[1:2]
	s_waitcnt lgkmcnt(0)
	v_mov_b32_e32 v5, s13
	v_add_co_u32_e32 v3, vcc, s12, v3
	v_addc_co_u32_e32 v4, vcc, v5, v4, vcc
	global_load_dwordx4 v[3:6], v[3:4], off glc slc
	v_mov_b32_e32 v7, s15
	v_add_co_u32_e32 v1, vcc, s14, v1
	v_addc_co_u32_e32 v2, vcc, v7, v2, vcc
	v_mov_b32_e32 v8, s7
	s_waitcnt vmcnt(0)
	v_subrev_co_u32_e32 v5, vcc, s8, v5
	v_subbrev_co_u32_e32 v6, vcc, 0, v6, vcc
	v_lshlrev_b64 v[5:6], 1, v[5:6]
	v_add_co_u32_e32 v5, vcc, s6, v5
	v_addc_co_u32_e32 v6, vcc, v8, v6, vcc
	global_load_ushort v7, v[5:6], off
	global_load_ushort v8, v[1:2], off
	v_subrev_co_u32_e32 v3, vcc, s8, v3
	v_subbrev_co_u32_e32 v4, vcc, 0, v4, vcc
	s_waitcnt vmcnt(1)
	v_lshlrev_b32_e32 v1, 16, v7
	s_waitcnt vmcnt(0)
	v_lshlrev_b32_e32 v2, 16, v8
	v_mul_f32_e32 v2, v2, v1
.LBB55_5:
	s_or_b64 exec, exec, s[0:1]
	v_lshlrev_b32_e32 v6, 2, v0
	v_lshlrev_b32_e32 v1, 3, v0
	v_or_b32_e32 v5, 0x800, v6
	v_cmp_ne_u32_e32 vcc, 0, v0
	ds_write_b64 v1, v[3:4]
	ds_write_b32 v6, v2 offset:2048
	s_waitcnt lgkmcnt(0)
	s_barrier
	s_and_saveexec_b64 s[0:1], vcc
	s_cbranch_execz .LBB55_9
; %bb.6:
	v_add_u32_e32 v6, -8, v1
	ds_read_b64 v[6:7], v6
	s_waitcnt lgkmcnt(0)
	v_cmp_eq_u64_e32 vcc, v[3:4], v[6:7]
	s_and_saveexec_b64 s[6:7], vcc
	s_cbranch_execz .LBB55_8
; %bb.7:
	v_add_u32_e32 v6, -4, v5
	ds_read_b32 v6, v6
	s_waitcnt lgkmcnt(0)
	v_add_f32_e32 v2, v2, v6
.LBB55_8:
	s_or_b64 exec, exec, s[6:7]
.LBB55_9:
	s_or_b64 exec, exec, s[0:1]
	v_cmp_lt_u32_e32 vcc, 1, v0
	s_barrier
	ds_write_b32 v5, v2
	s_waitcnt lgkmcnt(0)
	s_barrier
	s_and_saveexec_b64 s[0:1], vcc
	s_cbranch_execz .LBB55_13
; %bb.10:
	v_add_u32_e32 v6, -16, v1
	ds_read_b64 v[6:7], v6
	s_waitcnt lgkmcnt(0)
	v_cmp_eq_u64_e32 vcc, v[3:4], v[6:7]
	s_and_saveexec_b64 s[6:7], vcc
	s_cbranch_execz .LBB55_12
; %bb.11:
	v_add_u32_e32 v6, -8, v5
	ds_read_b32 v6, v6
	s_waitcnt lgkmcnt(0)
	v_add_f32_e32 v2, v2, v6
.LBB55_12:
	s_or_b64 exec, exec, s[6:7]
.LBB55_13:
	s_or_b64 exec, exec, s[0:1]
	v_cmp_lt_u32_e32 vcc, 3, v0
	s_barrier
	ds_write_b32 v5, v2
	s_waitcnt lgkmcnt(0)
	s_barrier
	s_and_saveexec_b64 s[0:1], vcc
	s_cbranch_execz .LBB55_17
; %bb.14:
	v_subrev_u32_e32 v6, 32, v1
	ds_read_b64 v[6:7], v6
	s_waitcnt lgkmcnt(0)
	v_cmp_eq_u64_e32 vcc, v[3:4], v[6:7]
	s_and_saveexec_b64 s[6:7], vcc
	s_cbranch_execz .LBB55_16
; %bb.15:
	v_add_u32_e32 v6, -16, v5
	ds_read_b32 v6, v6
	s_waitcnt lgkmcnt(0)
	v_add_f32_e32 v2, v2, v6
.LBB55_16:
	s_or_b64 exec, exec, s[6:7]
.LBB55_17:
	s_or_b64 exec, exec, s[0:1]
	v_cmp_lt_u32_e32 vcc, 7, v0
	s_barrier
	ds_write_b32 v5, v2
	s_waitcnt lgkmcnt(0)
	s_barrier
	s_and_saveexec_b64 s[0:1], vcc
	s_cbranch_execz .LBB55_21
; %bb.18:
	v_subrev_u32_e32 v6, 64, v1
	ds_read_b64 v[6:7], v6
	s_waitcnt lgkmcnt(0)
	v_cmp_eq_u64_e32 vcc, v[3:4], v[6:7]
	s_and_saveexec_b64 s[6:7], vcc
	s_cbranch_execz .LBB55_20
; %bb.19:
	v_subrev_u32_e32 v6, 32, v5
	ds_read_b32 v6, v6
	s_waitcnt lgkmcnt(0)
	v_add_f32_e32 v2, v2, v6
.LBB55_20:
	s_or_b64 exec, exec, s[6:7]
.LBB55_21:
	s_or_b64 exec, exec, s[0:1]
	v_cmp_lt_u32_e32 vcc, 15, v0
	s_barrier
	ds_write_b32 v5, v2
	s_waitcnt lgkmcnt(0)
	s_barrier
	s_and_saveexec_b64 s[0:1], vcc
	s_cbranch_execz .LBB55_25
; %bb.22:
	v_add_u32_e32 v6, 0xffffff80, v1
	ds_read_b64 v[6:7], v6
	s_waitcnt lgkmcnt(0)
	v_cmp_eq_u64_e32 vcc, v[3:4], v[6:7]
	s_and_saveexec_b64 s[6:7], vcc
	s_cbranch_execz .LBB55_24
; %bb.23:
	v_subrev_u32_e32 v6, 64, v5
	ds_read_b32 v6, v6
	s_waitcnt lgkmcnt(0)
	v_add_f32_e32 v2, v2, v6
.LBB55_24:
	s_or_b64 exec, exec, s[6:7]
.LBB55_25:
	s_or_b64 exec, exec, s[0:1]
	v_cmp_lt_u32_e32 vcc, 31, v0
	s_barrier
	ds_write_b32 v5, v2
	s_waitcnt lgkmcnt(0)
	s_barrier
	s_and_saveexec_b64 s[0:1], vcc
	s_cbranch_execz .LBB55_29
; %bb.26:
	v_add_u32_e32 v6, 0xffffff00, v1
	ds_read_b64 v[6:7], v6
	s_waitcnt lgkmcnt(0)
	v_cmp_eq_u64_e32 vcc, v[3:4], v[6:7]
	s_and_saveexec_b64 s[6:7], vcc
	s_cbranch_execz .LBB55_28
; %bb.27:
	v_add_u32_e32 v6, 0xffffff80, v5
	ds_read_b32 v6, v6
	s_waitcnt lgkmcnt(0)
	v_add_f32_e32 v2, v2, v6
.LBB55_28:
	s_or_b64 exec, exec, s[6:7]
.LBB55_29:
	s_or_b64 exec, exec, s[0:1]
	v_cmp_lt_u32_e32 vcc, 63, v0
	s_barrier
	ds_write_b32 v5, v2
	s_waitcnt lgkmcnt(0)
	s_barrier
	s_and_saveexec_b64 s[0:1], vcc
	s_cbranch_execz .LBB55_33
; %bb.30:
	v_add_u32_e32 v6, 0xfffffe00, v1
	ds_read_b64 v[6:7], v6
	s_waitcnt lgkmcnt(0)
	v_cmp_eq_u64_e32 vcc, v[3:4], v[6:7]
	s_and_saveexec_b64 s[6:7], vcc
	s_cbranch_execz .LBB55_32
; %bb.31:
	v_add_u32_e32 v6, 0xffffff00, v5
	ds_read_b32 v6, v6
	s_waitcnt lgkmcnt(0)
	v_add_f32_e32 v2, v2, v6
.LBB55_32:
	s_or_b64 exec, exec, s[6:7]
.LBB55_33:
	s_or_b64 exec, exec, s[0:1]
	s_load_dwordx2 s[4:5], s[4:5], 0x28
	s_movk_i32 s0, 0x7f
	v_cmp_lt_u32_e32 vcc, s0, v0
	s_waitcnt lgkmcnt(0)
	s_barrier
	ds_write_b32 v5, v2
	s_waitcnt lgkmcnt(0)
	s_barrier
	s_and_saveexec_b64 s[0:1], vcc
	s_cbranch_execz .LBB55_37
; %bb.34:
	v_add_u32_e32 v6, 0xfffffc00, v1
	ds_read_b64 v[6:7], v6
	s_waitcnt lgkmcnt(0)
	v_cmp_eq_u64_e32 vcc, v[3:4], v[6:7]
	s_and_saveexec_b64 s[6:7], vcc
	s_cbranch_execz .LBB55_36
; %bb.35:
	v_add_u32_e32 v6, 0xfffffe00, v5
	ds_read_b32 v6, v6
	s_waitcnt lgkmcnt(0)
	v_add_f32_e32 v2, v2, v6
.LBB55_36:
	s_or_b64 exec, exec, s[6:7]
.LBB55_37:
	s_or_b64 exec, exec, s[0:1]
	s_movk_i32 s3, 0xff
	v_cmp_gt_u32_e32 vcc, s3, v0
	s_barrier
	ds_write_b32 v5, v2
	s_waitcnt lgkmcnt(0)
	s_barrier
	s_and_saveexec_b64 s[6:7], vcc
	s_cbranch_execz .LBB55_41
; %bb.38:
	ds_read_b64 v[5:6], v1 offset:8
	v_cmp_lt_i64_e64 s[0:1], -1, v[3:4]
	s_waitcnt lgkmcnt(0)
	v_cmp_ne_u64_e32 vcc, v[3:4], v[5:6]
	s_and_b64 s[0:1], s[0:1], vcc
	s_and_b64 exec, exec, s[0:1]
	s_cbranch_execz .LBB55_41
; %bb.39:
	v_lshlrev_b64 v[5:6], 2, v[3:4]
	v_mov_b32_e32 v1, s5
	v_add_co_u32_e32 v5, vcc, s4, v5
	v_addc_co_u32_e32 v6, vcc, v1, v6, vcc
	global_load_dword v8, v[5:6], off
	v_mul_f32_e32 v1, s2, v2
	s_mov_b64 s[0:1], 0
.LBB55_40:                              ; =>This Inner Loop Header: Depth=1
	s_waitcnt vmcnt(0)
	v_add_f32_e32 v7, v8, v1
	global_atomic_cmpswap v7, v[5:6], v[7:8], off glc
	s_waitcnt vmcnt(0)
	v_cmp_eq_u32_e32 vcc, v7, v8
	s_or_b64 s[0:1], vcc, s[0:1]
	v_mov_b32_e32 v8, v7
	s_andn2_b64 exec, exec, s[0:1]
	s_cbranch_execnz .LBB55_40
.LBB55_41:
	s_or_b64 exec, exec, s[6:7]
	v_cmp_lt_i64_e32 vcc, -1, v[3:4]
	v_cmp_eq_u32_e64 s[0:1], s3, v0
	s_and_b64 s[0:1], s[0:1], vcc
	s_and_saveexec_b64 s[6:7], s[0:1]
	s_cbranch_execz .LBB55_44
; %bb.42:
	v_lshlrev_b64 v[0:1], 2, v[3:4]
	v_mov_b32_e32 v3, s5
	v_add_co_u32_e32 v0, vcc, s4, v0
	v_addc_co_u32_e32 v1, vcc, v3, v1, vcc
	global_load_dword v3, v[0:1], off
	v_mul_f32_e32 v4, s2, v2
	s_mov_b64 s[0:1], 0
.LBB55_43:                              ; =>This Inner Loop Header: Depth=1
	s_waitcnt vmcnt(0)
	v_add_f32_e32 v2, v3, v4
	global_atomic_cmpswap v2, v[0:1], v[2:3], off glc
	s_waitcnt vmcnt(0)
	v_cmp_eq_u32_e32 vcc, v2, v3
	s_or_b64 s[0:1], vcc, s[0:1]
	v_mov_b32_e32 v3, v2
	s_andn2_b64 exec, exec, s[0:1]
	s_cbranch_execnz .LBB55_43
.LBB55_44:
	s_endpgm
	.section	.rodata,"a",@progbits
	.p2align	6, 0x0
	.amdhsa_kernel _ZN9rocsparseL23coomvn_aos_atomic_loopsILj256ELj1El18rocsparse_bfloat16S1_ffEEvlNS_24const_host_device_scalarIT5_EEPKT1_PKT2_PKT3_PT4_21rocsparse_index_base_b
		.amdhsa_group_segment_fixed_size 3072
		.amdhsa_private_segment_fixed_size 0
		.amdhsa_kernarg_size 56
		.amdhsa_user_sgpr_count 6
		.amdhsa_user_sgpr_private_segment_buffer 1
		.amdhsa_user_sgpr_dispatch_ptr 0
		.amdhsa_user_sgpr_queue_ptr 0
		.amdhsa_user_sgpr_kernarg_segment_ptr 1
		.amdhsa_user_sgpr_dispatch_id 0
		.amdhsa_user_sgpr_flat_scratch_init 0
		.amdhsa_user_sgpr_private_segment_size 0
		.amdhsa_uses_dynamic_stack 0
		.amdhsa_system_sgpr_private_segment_wavefront_offset 0
		.amdhsa_system_sgpr_workgroup_id_x 1
		.amdhsa_system_sgpr_workgroup_id_y 0
		.amdhsa_system_sgpr_workgroup_id_z 0
		.amdhsa_system_sgpr_workgroup_info 0
		.amdhsa_system_vgpr_workitem_id 0
		.amdhsa_next_free_vgpr 9
		.amdhsa_next_free_sgpr 16
		.amdhsa_reserve_vcc 1
		.amdhsa_reserve_flat_scratch 0
		.amdhsa_float_round_mode_32 0
		.amdhsa_float_round_mode_16_64 0
		.amdhsa_float_denorm_mode_32 3
		.amdhsa_float_denorm_mode_16_64 3
		.amdhsa_dx10_clamp 1
		.amdhsa_ieee_mode 1
		.amdhsa_fp16_overflow 0
		.amdhsa_exception_fp_ieee_invalid_op 0
		.amdhsa_exception_fp_denorm_src 0
		.amdhsa_exception_fp_ieee_div_zero 0
		.amdhsa_exception_fp_ieee_overflow 0
		.amdhsa_exception_fp_ieee_underflow 0
		.amdhsa_exception_fp_ieee_inexact 0
		.amdhsa_exception_int_div_zero 0
	.end_amdhsa_kernel
	.section	.text._ZN9rocsparseL23coomvn_aos_atomic_loopsILj256ELj1El18rocsparse_bfloat16S1_ffEEvlNS_24const_host_device_scalarIT5_EEPKT1_PKT2_PKT3_PT4_21rocsparse_index_base_b,"axG",@progbits,_ZN9rocsparseL23coomvn_aos_atomic_loopsILj256ELj1El18rocsparse_bfloat16S1_ffEEvlNS_24const_host_device_scalarIT5_EEPKT1_PKT2_PKT3_PT4_21rocsparse_index_base_b,comdat
.Lfunc_end55:
	.size	_ZN9rocsparseL23coomvn_aos_atomic_loopsILj256ELj1El18rocsparse_bfloat16S1_ffEEvlNS_24const_host_device_scalarIT5_EEPKT1_PKT2_PKT3_PT4_21rocsparse_index_base_b, .Lfunc_end55-_ZN9rocsparseL23coomvn_aos_atomic_loopsILj256ELj1El18rocsparse_bfloat16S1_ffEEvlNS_24const_host_device_scalarIT5_EEPKT1_PKT2_PKT3_PT4_21rocsparse_index_base_b
                                        ; -- End function
	.set _ZN9rocsparseL23coomvn_aos_atomic_loopsILj256ELj1El18rocsparse_bfloat16S1_ffEEvlNS_24const_host_device_scalarIT5_EEPKT1_PKT2_PKT3_PT4_21rocsparse_index_base_b.num_vgpr, 9
	.set _ZN9rocsparseL23coomvn_aos_atomic_loopsILj256ELj1El18rocsparse_bfloat16S1_ffEEvlNS_24const_host_device_scalarIT5_EEPKT1_PKT2_PKT3_PT4_21rocsparse_index_base_b.num_agpr, 0
	.set _ZN9rocsparseL23coomvn_aos_atomic_loopsILj256ELj1El18rocsparse_bfloat16S1_ffEEvlNS_24const_host_device_scalarIT5_EEPKT1_PKT2_PKT3_PT4_21rocsparse_index_base_b.numbered_sgpr, 16
	.set _ZN9rocsparseL23coomvn_aos_atomic_loopsILj256ELj1El18rocsparse_bfloat16S1_ffEEvlNS_24const_host_device_scalarIT5_EEPKT1_PKT2_PKT3_PT4_21rocsparse_index_base_b.num_named_barrier, 0
	.set _ZN9rocsparseL23coomvn_aos_atomic_loopsILj256ELj1El18rocsparse_bfloat16S1_ffEEvlNS_24const_host_device_scalarIT5_EEPKT1_PKT2_PKT3_PT4_21rocsparse_index_base_b.private_seg_size, 0
	.set _ZN9rocsparseL23coomvn_aos_atomic_loopsILj256ELj1El18rocsparse_bfloat16S1_ffEEvlNS_24const_host_device_scalarIT5_EEPKT1_PKT2_PKT3_PT4_21rocsparse_index_base_b.uses_vcc, 1
	.set _ZN9rocsparseL23coomvn_aos_atomic_loopsILj256ELj1El18rocsparse_bfloat16S1_ffEEvlNS_24const_host_device_scalarIT5_EEPKT1_PKT2_PKT3_PT4_21rocsparse_index_base_b.uses_flat_scratch, 0
	.set _ZN9rocsparseL23coomvn_aos_atomic_loopsILj256ELj1El18rocsparse_bfloat16S1_ffEEvlNS_24const_host_device_scalarIT5_EEPKT1_PKT2_PKT3_PT4_21rocsparse_index_base_b.has_dyn_sized_stack, 0
	.set _ZN9rocsparseL23coomvn_aos_atomic_loopsILj256ELj1El18rocsparse_bfloat16S1_ffEEvlNS_24const_host_device_scalarIT5_EEPKT1_PKT2_PKT3_PT4_21rocsparse_index_base_b.has_recursion, 0
	.set _ZN9rocsparseL23coomvn_aos_atomic_loopsILj256ELj1El18rocsparse_bfloat16S1_ffEEvlNS_24const_host_device_scalarIT5_EEPKT1_PKT2_PKT3_PT4_21rocsparse_index_base_b.has_indirect_call, 0
	.section	.AMDGPU.csdata,"",@progbits
; Kernel info:
; codeLenInByte = 1268
; TotalNumSgprs: 20
; NumVgprs: 9
; ScratchSize: 0
; MemoryBound: 0
; FloatMode: 240
; IeeeMode: 1
; LDSByteSize: 3072 bytes/workgroup (compile time only)
; SGPRBlocks: 2
; VGPRBlocks: 2
; NumSGPRsForWavesPerEU: 20
; NumVGPRsForWavesPerEU: 9
; Occupancy: 10
; WaveLimiterHint : 1
; COMPUTE_PGM_RSRC2:SCRATCH_EN: 0
; COMPUTE_PGM_RSRC2:USER_SGPR: 6
; COMPUTE_PGM_RSRC2:TRAP_HANDLER: 0
; COMPUTE_PGM_RSRC2:TGID_X_EN: 1
; COMPUTE_PGM_RSRC2:TGID_Y_EN: 0
; COMPUTE_PGM_RSRC2:TGID_Z_EN: 0
; COMPUTE_PGM_RSRC2:TIDIG_COMP_CNT: 0
	.section	.text._ZN9rocsparseL17coomvt_aos_kernelILj1024El18rocsparse_bfloat16S1_ffEEv20rocsparse_operation_lNS_24const_host_device_scalarIT4_EEPKT0_PKT1_PKT2_PT3_21rocsparse_index_base_b,"axG",@progbits,_ZN9rocsparseL17coomvt_aos_kernelILj1024El18rocsparse_bfloat16S1_ffEEv20rocsparse_operation_lNS_24const_host_device_scalarIT4_EEPKT0_PKT1_PKT2_PT3_21rocsparse_index_base_b,comdat
	.globl	_ZN9rocsparseL17coomvt_aos_kernelILj1024El18rocsparse_bfloat16S1_ffEEv20rocsparse_operation_lNS_24const_host_device_scalarIT4_EEPKT0_PKT1_PKT2_PT3_21rocsparse_index_base_b ; -- Begin function _ZN9rocsparseL17coomvt_aos_kernelILj1024El18rocsparse_bfloat16S1_ffEEv20rocsparse_operation_lNS_24const_host_device_scalarIT4_EEPKT0_PKT1_PKT2_PT3_21rocsparse_index_base_b
	.p2align	8
	.type	_ZN9rocsparseL17coomvt_aos_kernelILj1024El18rocsparse_bfloat16S1_ffEEv20rocsparse_operation_lNS_24const_host_device_scalarIT4_EEPKT0_PKT1_PKT2_PT3_21rocsparse_index_base_b,@function
_ZN9rocsparseL17coomvt_aos_kernelILj1024El18rocsparse_bfloat16S1_ffEEv20rocsparse_operation_lNS_24const_host_device_scalarIT4_EEPKT0_PKT1_PKT2_PT3_21rocsparse_index_base_b: ; @_ZN9rocsparseL17coomvt_aos_kernelILj1024El18rocsparse_bfloat16S1_ffEEv20rocsparse_operation_lNS_24const_host_device_scalarIT4_EEPKT0_PKT1_PKT2_PT3_21rocsparse_index_base_b
; %bb.0:
	s_load_dwordx2 s[16:17], s[4:5], 0x38
	s_load_dwordx4 s[0:3], s[4:5], 0x8
	s_waitcnt lgkmcnt(0)
	s_bitcmp1_b32 s17, 0
	s_cselect_b64 s[8:9], -1, 0
	s_and_b64 vcc, exec, s[8:9]
	s_cbranch_vccnz .LBB56_2
; %bb.1:
	s_load_dword s2, s[2:3], 0x0
.LBB56_2:
	s_waitcnt lgkmcnt(0)
	v_cmp_eq_f32_e64 s[8:9], s2, 0
	s_and_b64 vcc, exec, s[8:9]
	s_cbranch_vccnz .LBB56_6
; %bb.3:
	s_load_dword s3, s[4:5], 0x4c
	v_mov_b32_e32 v1, 0
	s_waitcnt lgkmcnt(0)
	s_and_b32 s3, s3, 0xffff
	s_mul_i32 s6, s6, s3
	v_add_u32_e32 v0, s6, v0
	v_cmp_gt_i64_e32 vcc, s[0:1], v[0:1]
	s_and_saveexec_b64 s[0:1], vcc
	s_cbranch_execz .LBB56_6
; %bb.4:
	s_load_dwordx8 s[8:15], s[4:5], 0x18
	v_lshlrev_b64 v[2:3], 4, v[0:1]
	v_lshlrev_b64 v[0:1], 1, v[0:1]
	s_mov_b64 s[0:1], 0
	s_waitcnt lgkmcnt(0)
	v_mov_b32_e32 v4, s9
	v_add_co_u32_e32 v2, vcc, s8, v2
	v_addc_co_u32_e32 v3, vcc, v4, v3, vcc
	global_load_dwordx4 v[2:5], v[2:3], off
	v_mov_b32_e32 v6, s11
	v_add_co_u32_e32 v0, vcc, s10, v0
	v_addc_co_u32_e32 v1, vcc, v6, v1, vcc
	global_load_ushort v6, v[0:1], off
	v_mov_b32_e32 v8, s13
	v_mov_b32_e32 v7, s15
	s_waitcnt vmcnt(1)
	v_subrev_co_u32_e32 v0, vcc, s16, v2
	v_subbrev_co_u32_e32 v1, vcc, 0, v3, vcc
	v_subrev_co_u32_e32 v2, vcc, s16, v4
	v_lshlrev_b64 v[0:1], 1, v[0:1]
	v_subbrev_co_u32_e32 v3, vcc, 0, v5, vcc
	v_lshlrev_b64 v[2:3], 2, v[2:3]
	v_add_co_u32_e32 v0, vcc, s12, v0
	v_addc_co_u32_e32 v1, vcc, v8, v1, vcc
	global_load_ushort v4, v[0:1], off
	v_add_co_u32_e32 v0, vcc, s14, v2
	v_addc_co_u32_e32 v1, vcc, v7, v3, vcc
	global_load_dword v3, v[0:1], off
	s_waitcnt vmcnt(2)
	v_lshlrev_b32_e32 v2, 16, v6
	v_mul_f32_e32 v2, s2, v2
	s_waitcnt vmcnt(1)
	v_lshlrev_b32_e32 v4, 16, v4
	v_mul_f32_e32 v4, v2, v4
.LBB56_5:                               ; =>This Inner Loop Header: Depth=1
	s_waitcnt vmcnt(0)
	v_add_f32_e32 v2, v3, v4
	global_atomic_cmpswap v2, v[0:1], v[2:3], off glc
	s_waitcnt vmcnt(0)
	v_cmp_eq_u32_e32 vcc, v2, v3
	s_or_b64 s[0:1], vcc, s[0:1]
	v_mov_b32_e32 v3, v2
	s_andn2_b64 exec, exec, s[0:1]
	s_cbranch_execnz .LBB56_5
.LBB56_6:
	s_endpgm
	.section	.rodata,"a",@progbits
	.p2align	6, 0x0
	.amdhsa_kernel _ZN9rocsparseL17coomvt_aos_kernelILj1024El18rocsparse_bfloat16S1_ffEEv20rocsparse_operation_lNS_24const_host_device_scalarIT4_EEPKT0_PKT1_PKT2_PT3_21rocsparse_index_base_b
		.amdhsa_group_segment_fixed_size 0
		.amdhsa_private_segment_fixed_size 0
		.amdhsa_kernarg_size 320
		.amdhsa_user_sgpr_count 6
		.amdhsa_user_sgpr_private_segment_buffer 1
		.amdhsa_user_sgpr_dispatch_ptr 0
		.amdhsa_user_sgpr_queue_ptr 0
		.amdhsa_user_sgpr_kernarg_segment_ptr 1
		.amdhsa_user_sgpr_dispatch_id 0
		.amdhsa_user_sgpr_flat_scratch_init 0
		.amdhsa_user_sgpr_private_segment_size 0
		.amdhsa_uses_dynamic_stack 0
		.amdhsa_system_sgpr_private_segment_wavefront_offset 0
		.amdhsa_system_sgpr_workgroup_id_x 1
		.amdhsa_system_sgpr_workgroup_id_y 0
		.amdhsa_system_sgpr_workgroup_id_z 0
		.amdhsa_system_sgpr_workgroup_info 0
		.amdhsa_system_vgpr_workitem_id 0
		.amdhsa_next_free_vgpr 9
		.amdhsa_next_free_sgpr 18
		.amdhsa_reserve_vcc 1
		.amdhsa_reserve_flat_scratch 0
		.amdhsa_float_round_mode_32 0
		.amdhsa_float_round_mode_16_64 0
		.amdhsa_float_denorm_mode_32 3
		.amdhsa_float_denorm_mode_16_64 3
		.amdhsa_dx10_clamp 1
		.amdhsa_ieee_mode 1
		.amdhsa_fp16_overflow 0
		.amdhsa_exception_fp_ieee_invalid_op 0
		.amdhsa_exception_fp_denorm_src 0
		.amdhsa_exception_fp_ieee_div_zero 0
		.amdhsa_exception_fp_ieee_overflow 0
		.amdhsa_exception_fp_ieee_underflow 0
		.amdhsa_exception_fp_ieee_inexact 0
		.amdhsa_exception_int_div_zero 0
	.end_amdhsa_kernel
	.section	.text._ZN9rocsparseL17coomvt_aos_kernelILj1024El18rocsparse_bfloat16S1_ffEEv20rocsparse_operation_lNS_24const_host_device_scalarIT4_EEPKT0_PKT1_PKT2_PT3_21rocsparse_index_base_b,"axG",@progbits,_ZN9rocsparseL17coomvt_aos_kernelILj1024El18rocsparse_bfloat16S1_ffEEv20rocsparse_operation_lNS_24const_host_device_scalarIT4_EEPKT0_PKT1_PKT2_PT3_21rocsparse_index_base_b,comdat
.Lfunc_end56:
	.size	_ZN9rocsparseL17coomvt_aos_kernelILj1024El18rocsparse_bfloat16S1_ffEEv20rocsparse_operation_lNS_24const_host_device_scalarIT4_EEPKT0_PKT1_PKT2_PT3_21rocsparse_index_base_b, .Lfunc_end56-_ZN9rocsparseL17coomvt_aos_kernelILj1024El18rocsparse_bfloat16S1_ffEEv20rocsparse_operation_lNS_24const_host_device_scalarIT4_EEPKT0_PKT1_PKT2_PT3_21rocsparse_index_base_b
                                        ; -- End function
	.set _ZN9rocsparseL17coomvt_aos_kernelILj1024El18rocsparse_bfloat16S1_ffEEv20rocsparse_operation_lNS_24const_host_device_scalarIT4_EEPKT0_PKT1_PKT2_PT3_21rocsparse_index_base_b.num_vgpr, 9
	.set _ZN9rocsparseL17coomvt_aos_kernelILj1024El18rocsparse_bfloat16S1_ffEEv20rocsparse_operation_lNS_24const_host_device_scalarIT4_EEPKT0_PKT1_PKT2_PT3_21rocsparse_index_base_b.num_agpr, 0
	.set _ZN9rocsparseL17coomvt_aos_kernelILj1024El18rocsparse_bfloat16S1_ffEEv20rocsparse_operation_lNS_24const_host_device_scalarIT4_EEPKT0_PKT1_PKT2_PT3_21rocsparse_index_base_b.numbered_sgpr, 18
	.set _ZN9rocsparseL17coomvt_aos_kernelILj1024El18rocsparse_bfloat16S1_ffEEv20rocsparse_operation_lNS_24const_host_device_scalarIT4_EEPKT0_PKT1_PKT2_PT3_21rocsparse_index_base_b.num_named_barrier, 0
	.set _ZN9rocsparseL17coomvt_aos_kernelILj1024El18rocsparse_bfloat16S1_ffEEv20rocsparse_operation_lNS_24const_host_device_scalarIT4_EEPKT0_PKT1_PKT2_PT3_21rocsparse_index_base_b.private_seg_size, 0
	.set _ZN9rocsparseL17coomvt_aos_kernelILj1024El18rocsparse_bfloat16S1_ffEEv20rocsparse_operation_lNS_24const_host_device_scalarIT4_EEPKT0_PKT1_PKT2_PT3_21rocsparse_index_base_b.uses_vcc, 1
	.set _ZN9rocsparseL17coomvt_aos_kernelILj1024El18rocsparse_bfloat16S1_ffEEv20rocsparse_operation_lNS_24const_host_device_scalarIT4_EEPKT0_PKT1_PKT2_PT3_21rocsparse_index_base_b.uses_flat_scratch, 0
	.set _ZN9rocsparseL17coomvt_aos_kernelILj1024El18rocsparse_bfloat16S1_ffEEv20rocsparse_operation_lNS_24const_host_device_scalarIT4_EEPKT0_PKT1_PKT2_PT3_21rocsparse_index_base_b.has_dyn_sized_stack, 0
	.set _ZN9rocsparseL17coomvt_aos_kernelILj1024El18rocsparse_bfloat16S1_ffEEv20rocsparse_operation_lNS_24const_host_device_scalarIT4_EEPKT0_PKT1_PKT2_PT3_21rocsparse_index_base_b.has_recursion, 0
	.set _ZN9rocsparseL17coomvt_aos_kernelILj1024El18rocsparse_bfloat16S1_ffEEv20rocsparse_operation_lNS_24const_host_device_scalarIT4_EEPKT0_PKT1_PKT2_PT3_21rocsparse_index_base_b.has_indirect_call, 0
	.section	.AMDGPU.csdata,"",@progbits
; Kernel info:
; codeLenInByte = 324
; TotalNumSgprs: 22
; NumVgprs: 9
; ScratchSize: 0
; MemoryBound: 0
; FloatMode: 240
; IeeeMode: 1
; LDSByteSize: 0 bytes/workgroup (compile time only)
; SGPRBlocks: 2
; VGPRBlocks: 2
; NumSGPRsForWavesPerEU: 22
; NumVGPRsForWavesPerEU: 9
; Occupancy: 10
; WaveLimiterHint : 1
; COMPUTE_PGM_RSRC2:SCRATCH_EN: 0
; COMPUTE_PGM_RSRC2:USER_SGPR: 6
; COMPUTE_PGM_RSRC2:TRAP_HANDLER: 0
; COMPUTE_PGM_RSRC2:TGID_X_EN: 1
; COMPUTE_PGM_RSRC2:TGID_Y_EN: 0
; COMPUTE_PGM_RSRC2:TGID_Z_EN: 0
; COMPUTE_PGM_RSRC2:TIDIG_COMP_CNT: 0
	.section	.text._ZN9rocsparseL26coomvn_aos_segmented_loopsILj256El18rocsparse_bfloat16S1_ffEEvlT0_NS_24const_host_device_scalarIT4_EEPKS2_PKT1_PKT2_PT3_PS2_PS4_21rocsparse_index_base_b,"axG",@progbits,_ZN9rocsparseL26coomvn_aos_segmented_loopsILj256El18rocsparse_bfloat16S1_ffEEvlT0_NS_24const_host_device_scalarIT4_EEPKS2_PKT1_PKT2_PT3_PS2_PS4_21rocsparse_index_base_b,comdat
	.globl	_ZN9rocsparseL26coomvn_aos_segmented_loopsILj256El18rocsparse_bfloat16S1_ffEEvlT0_NS_24const_host_device_scalarIT4_EEPKS2_PKT1_PKT2_PT3_PS2_PS4_21rocsparse_index_base_b ; -- Begin function _ZN9rocsparseL26coomvn_aos_segmented_loopsILj256El18rocsparse_bfloat16S1_ffEEvlT0_NS_24const_host_device_scalarIT4_EEPKS2_PKT1_PKT2_PT3_PS2_PS4_21rocsparse_index_base_b
	.p2align	8
	.type	_ZN9rocsparseL26coomvn_aos_segmented_loopsILj256El18rocsparse_bfloat16S1_ffEEvlT0_NS_24const_host_device_scalarIT4_EEPKS2_PKT1_PKT2_PT3_PS2_PS4_21rocsparse_index_base_b,@function
_ZN9rocsparseL26coomvn_aos_segmented_loopsILj256El18rocsparse_bfloat16S1_ffEEvlT0_NS_24const_host_device_scalarIT4_EEPKS2_PKT1_PKT2_PT3_PS2_PS4_21rocsparse_index_base_b: ; @_ZN9rocsparseL26coomvn_aos_segmented_loopsILj256El18rocsparse_bfloat16S1_ffEEvlT0_NS_24const_host_device_scalarIT4_EEPKS2_PKT1_PKT2_PT3_PS2_PS4_21rocsparse_index_base_b
; %bb.0:
	s_load_dwordx2 s[40:41], s[4:5], 0x48
	s_load_dwordx2 s[34:35], s[4:5], 0x10
	s_waitcnt lgkmcnt(0)
	s_bitcmp1_b32 s41, 0
	s_cselect_b64 s[0:1], -1, 0
	s_and_b64 vcc, exec, s[0:1]
	s_cbranch_vccnz .LBB57_2
; %bb.1:
	s_load_dword s34, s[34:35], 0x0
.LBB57_2:
	s_waitcnt lgkmcnt(0)
	v_cmp_eq_f32_e64 s[0:1], s34, 0
	s_mov_b32 s7, 0
	s_and_b64 vcc, exec, s[0:1]
	s_cbranch_vccnz .LBB57_89
; %bb.3:
	s_load_dwordx4 s[28:31], s[4:5], 0x0
	s_load_dwordx4 s[36:39], s[4:5], 0x18
	s_load_dwordx2 s[46:47], s[4:5], 0x28
	v_mov_b32_e32 v1, -1
	v_mov_b32_e32 v2, -1
	s_waitcnt lgkmcnt(0)
	s_mul_i32 s1, s6, s31
	s_mul_hi_u32 s2, s6, s30
	s_mul_i32 s0, s6, s30
	s_add_i32 s1, s2, s1
	s_lshl_b64 s[0:1], s[0:1], 8
	v_or_b32_e32 v3, s0, v0
	v_mov_b32_e32 v4, s1
	v_cmp_gt_i64_e32 vcc, s[28:29], v[3:4]
	v_mov_b32_e32 v15, 0
	s_and_saveexec_b64 s[0:1], vcc
	s_cbranch_execz .LBB57_5
; %bb.4:
	v_lshlrev_b64 v[1:2], 4, v[3:4]
	v_mov_b32_e32 v5, s37
	v_add_co_u32_e32 v1, vcc, s36, v1
	v_addc_co_u32_e32 v2, vcc, v5, v2, vcc
	global_load_dwordx4 v[5:8], v[1:2], off glc slc
	v_lshlrev_b64 v[1:2], 1, v[3:4]
	v_mov_b32_e32 v9, s39
	v_add_co_u32_e32 v1, vcc, s38, v1
	v_addc_co_u32_e32 v2, vcc, v9, v2, vcc
	global_load_ushort v11, v[1:2], off
	v_mov_b32_e32 v10, s47
	s_ashr_i32 s41, s40, 31
	s_lshl_b64 s[2:3], s[40:41], 1
	v_mov_b32_e32 v9, s3
	s_waitcnt vmcnt(1)
	v_lshlrev_b64 v[1:2], 1, v[7:8]
	v_add_co_u32_e32 v1, vcc, s46, v1
	v_addc_co_u32_e32 v2, vcc, v10, v2, vcc
	v_subrev_co_u32_e32 v1, vcc, s2, v1
	v_subb_co_u32_e32 v2, vcc, v2, v9, vcc
	global_load_ushort v7, v[1:2], off
	v_subrev_co_u32_e32 v1, vcc, s40, v5
	v_subbrev_co_u32_e32 v2, vcc, 0, v6, vcc
	s_waitcnt vmcnt(1)
	v_lshlrev_b32_e32 v5, 16, v11
	s_waitcnt vmcnt(0)
	v_lshlrev_b32_e32 v6, 16, v7
	v_mul_f32_e32 v15, v5, v6
.LBB57_5:
	s_or_b64 exec, exec, s[0:1]
	v_lshlrev_b32_e32 v11, 3, v0
	v_lshlrev_b32_e32 v5, 2, v0
	v_or_b32_e32 v12, 0x800, v5
	v_cmp_eq_u32_e64 s[0:1], 0, v0
	v_cmp_ne_u32_e64 s[2:3], 0, v0
	v_add_u32_e32 v13, -8, v11
	ds_write_b64 v11, v[1:2]
	ds_write_b32 v5, v15 offset:2048
	s_waitcnt lgkmcnt(0)
	s_barrier
	s_and_saveexec_b64 s[8:9], s[2:3]
	s_cbranch_execz .LBB57_9
; %bb.6:
	ds_read_b64 v[5:6], v13
	s_waitcnt lgkmcnt(0)
	v_cmp_eq_u64_e32 vcc, v[1:2], v[5:6]
	s_and_saveexec_b64 s[10:11], vcc
	s_cbranch_execz .LBB57_8
; %bb.7:
	v_add_u32_e32 v5, -4, v12
	ds_read_b32 v5, v5
	s_waitcnt lgkmcnt(0)
	v_add_f32_e32 v15, v15, v5
.LBB57_8:
	s_or_b64 exec, exec, s[10:11]
.LBB57_9:
	s_or_b64 exec, exec, s[8:9]
	v_cmp_lt_u32_e64 s[22:23], 1, v0
	v_add_u32_e32 v14, -16, v11
	s_barrier
	ds_write_b32 v12, v15
	s_waitcnt lgkmcnt(0)
	s_barrier
	s_and_saveexec_b64 s[8:9], s[22:23]
	s_cbranch_execz .LBB57_13
; %bb.10:
	ds_read_b64 v[5:6], v14
	s_waitcnt lgkmcnt(0)
	v_cmp_eq_u64_e32 vcc, v[1:2], v[5:6]
	s_and_saveexec_b64 s[10:11], vcc
	s_cbranch_execz .LBB57_12
; %bb.11:
	v_add_u32_e32 v5, -8, v12
	ds_read_b32 v5, v5
	s_waitcnt lgkmcnt(0)
	v_add_f32_e32 v15, v15, v5
.LBB57_12:
	s_or_b64 exec, exec, s[10:11]
.LBB57_13:
	s_or_b64 exec, exec, s[8:9]
	v_cmp_lt_u32_e64 s[8:9], 3, v0
	v_subrev_u32_e32 v16, 32, v11
	s_barrier
	ds_write_b32 v12, v15
	s_waitcnt lgkmcnt(0)
	s_barrier
	s_and_saveexec_b64 s[10:11], s[8:9]
	s_cbranch_execz .LBB57_17
; %bb.14:
	ds_read_b64 v[5:6], v16
	s_waitcnt lgkmcnt(0)
	v_cmp_eq_u64_e32 vcc, v[1:2], v[5:6]
	s_and_saveexec_b64 s[12:13], vcc
	s_cbranch_execz .LBB57_16
; %bb.15:
	v_add_u32_e32 v5, -16, v12
	ds_read_b32 v5, v5
	s_waitcnt lgkmcnt(0)
	v_add_f32_e32 v15, v15, v5
.LBB57_16:
	s_or_b64 exec, exec, s[12:13]
.LBB57_17:
	s_or_b64 exec, exec, s[10:11]
	v_cmp_lt_u32_e64 s[10:11], 7, v0
	v_subrev_u32_e32 v17, 64, v11
	s_barrier
	ds_write_b32 v12, v15
	s_waitcnt lgkmcnt(0)
	s_barrier
	s_and_saveexec_b64 s[12:13], s[10:11]
	s_cbranch_execz .LBB57_21
; %bb.18:
	ds_read_b64 v[5:6], v17
	s_waitcnt lgkmcnt(0)
	v_cmp_eq_u64_e32 vcc, v[1:2], v[5:6]
	s_and_saveexec_b64 s[14:15], vcc
	s_cbranch_execz .LBB57_20
; %bb.19:
	v_subrev_u32_e32 v5, 32, v12
	ds_read_b32 v5, v5
	s_waitcnt lgkmcnt(0)
	v_add_f32_e32 v15, v15, v5
.LBB57_20:
	s_or_b64 exec, exec, s[14:15]
.LBB57_21:
	s_or_b64 exec, exec, s[12:13]
	v_cmp_lt_u32_e64 s[12:13], 15, v0
	s_barrier
	ds_write_b32 v12, v15
	s_waitcnt lgkmcnt(0)
	s_barrier
	s_and_saveexec_b64 s[14:15], s[12:13]
	s_cbranch_execz .LBB57_25
; %bb.22:
	v_add_u32_e32 v5, 0xffffff80, v11
	ds_read_b64 v[5:6], v5
	s_waitcnt lgkmcnt(0)
	v_cmp_eq_u64_e32 vcc, v[1:2], v[5:6]
	s_and_saveexec_b64 s[16:17], vcc
	s_cbranch_execz .LBB57_24
; %bb.23:
	v_subrev_u32_e32 v5, 64, v12
	ds_read_b32 v5, v5
	s_waitcnt lgkmcnt(0)
	v_add_f32_e32 v15, v15, v5
.LBB57_24:
	s_or_b64 exec, exec, s[16:17]
.LBB57_25:
	s_or_b64 exec, exec, s[14:15]
	v_cmp_lt_u32_e64 s[14:15], 31, v0
	s_barrier
	ds_write_b32 v12, v15
	s_waitcnt lgkmcnt(0)
	s_barrier
	s_and_saveexec_b64 s[16:17], s[14:15]
	s_cbranch_execz .LBB57_29
; %bb.26:
	v_add_u32_e32 v5, 0xffffff00, v11
	ds_read_b64 v[5:6], v5
	s_waitcnt lgkmcnt(0)
	v_cmp_eq_u64_e32 vcc, v[1:2], v[5:6]
	s_and_saveexec_b64 s[18:19], vcc
	s_cbranch_execz .LBB57_28
; %bb.27:
	v_add_u32_e32 v5, 0xffffff80, v12
	ds_read_b32 v5, v5
	s_waitcnt lgkmcnt(0)
	v_add_f32_e32 v15, v15, v5
.LBB57_28:
	s_or_b64 exec, exec, s[18:19]
.LBB57_29:
	s_or_b64 exec, exec, s[16:17]
	v_cmp_lt_u32_e64 s[16:17], 63, v0
	s_barrier
	ds_write_b32 v12, v15
	s_waitcnt lgkmcnt(0)
	s_barrier
	s_and_saveexec_b64 s[18:19], s[16:17]
	s_cbranch_execz .LBB57_33
; %bb.30:
	v_add_u32_e32 v5, 0xfffffe00, v11
	ds_read_b64 v[5:6], v5
	s_waitcnt lgkmcnt(0)
	v_cmp_eq_u64_e32 vcc, v[1:2], v[5:6]
	s_and_saveexec_b64 s[20:21], vcc
	s_cbranch_execz .LBB57_32
; %bb.31:
	v_add_u32_e32 v5, 0xffffff00, v12
	ds_read_b32 v5, v5
	s_waitcnt lgkmcnt(0)
	v_add_f32_e32 v15, v15, v5
.LBB57_32:
	s_or_b64 exec, exec, s[20:21]
.LBB57_33:
	s_or_b64 exec, exec, s[18:19]
	s_load_dwordx2 s[42:43], s[4:5], 0x30
	s_movk_i32 s18, 0x7f
	v_cmp_lt_u32_e64 s[18:19], s18, v0
	s_waitcnt lgkmcnt(0)
	s_barrier
	ds_write_b32 v12, v15
	s_waitcnt lgkmcnt(0)
	s_barrier
	s_and_saveexec_b64 s[20:21], s[18:19]
	s_cbranch_execz .LBB57_37
; %bb.34:
	v_add_u32_e32 v5, 0xfffffc00, v11
	ds_read_b64 v[5:6], v5
	s_waitcnt lgkmcnt(0)
	v_cmp_eq_u64_e32 vcc, v[1:2], v[5:6]
	s_and_saveexec_b64 s[24:25], vcc
	s_cbranch_execz .LBB57_36
; %bb.35:
	v_add_u32_e32 v5, 0xfffffe00, v12
	ds_read_b32 v5, v5
	s_waitcnt lgkmcnt(0)
	v_add_f32_e32 v15, v15, v5
.LBB57_36:
	s_or_b64 exec, exec, s[24:25]
.LBB57_37:
	s_or_b64 exec, exec, s[20:21]
	s_movk_i32 s20, 0xff
	v_cmp_gt_u32_e64 s[20:21], s20, v0
	s_barrier
	ds_write_b32 v12, v15
	s_waitcnt lgkmcnt(0)
	s_barrier
	s_and_saveexec_b64 s[26:27], s[20:21]
	s_cbranch_execz .LBB57_40
; %bb.38:
	ds_read_b64 v[5:6], v11 offset:8
	v_cmp_lt_i64_e64 s[24:25], -1, v[1:2]
	s_waitcnt lgkmcnt(0)
	v_cmp_ne_u64_e32 vcc, v[1:2], v[5:6]
	s_and_b64 s[24:25], s[24:25], vcc
	s_and_b64 exec, exec, s[24:25]
	s_cbranch_execz .LBB57_40
; %bb.39:
	v_lshlrev_b64 v[5:6], 2, v[1:2]
	v_mov_b32_e32 v7, s43
	v_add_co_u32_e32 v5, vcc, s42, v5
	v_addc_co_u32_e32 v6, vcc, v7, v6, vcc
	global_load_dword v7, v[5:6], off
	s_waitcnt vmcnt(0)
	v_fmac_f32_e32 v7, s34, v15
	global_store_dword v[5:6], v7, off
.LBB57_40:
	s_or_b64 exec, exec, s[26:27]
	s_load_dwordx4 s[24:27], s[4:5], 0x38
	v_cmp_lt_i64_e64 s[4:5], s[30:31], 2
	s_and_b64 vcc, exec, s[4:5]
	s_cbranch_vccnz .LBB57_87
; %bb.41:
	s_add_u32 s44, s30, -1
	s_addc_u32 s45, s31, -1
	s_ashr_i32 s41, s40, 31
	s_lshl_b64 s[4:5], s[40:41], 1
	s_sub_u32 s33, s46, s4
	s_subb_u32 s35, s47, s5
	s_mul_i32 s4, s31, s6
	s_mul_hi_u32 s5, s30, s6
	s_add_i32 s5, s5, s4
	s_mul_i32 s4, s30, s6
	s_lshl_b64 s[30:31], s[4:5], 9
	s_add_u32 s30, s38, s30
	s_addc_u32 s31, s39, s31
	s_lshl_b64 s[4:5], s[4:5], 12
	s_add_u32 s4, s36, s4
	v_lshlrev_b32_e32 v2, 4, v0
	s_addc_u32 s5, s37, s5
	v_mov_b32_e32 v5, s5
	v_add_co_u32_e32 v2, vcc, s4, v2
	v_addc_co_u32_e32 v6, vcc, 0, v5, vcc
	s_movk_i32 s4, 0x1008
	v_add_co_u32_e32 v5, vcc, s4, v2
	s_movk_i32 s36, 0x100
	s_mov_b64 s[4:5], vcc
	v_add_co_u32_e32 v3, vcc, s36, v3
	v_lshlrev_b32_e32 v1, 1, v0
	v_addc_co_u32_e32 v4, vcc, 0, v4, vcc
	v_mov_b32_e32 v2, s31
	v_add_co_u32_e32 v1, vcc, s30, v1
	v_addc_co_u32_e32 v2, vcc, 0, v2, vcc
	s_movk_i32 s30, 0x200
	v_add_co_u32_e32 v7, vcc, s30, v1
	v_add_u32_e32 v18, -16, v12
	v_subrev_u32_e32 v19, 32, v12
	v_add_u32_e32 v20, 0xffffff80, v11
	v_subrev_u32_e32 v21, 64, v12
	v_add_u32_e32 v22, 0xffffff00, v11
	v_add_u32_e32 v23, 0xffffff80, v12
	;; [unrolled: 1-line block ×3, first 2 shown]
	v_addc_co_u32_e32 v8, vcc, 0, v2, vcc
	v_add_u32_e32 v25, 0xffffff00, v12
	v_addc_co_u32_e64 v6, vcc, 0, v6, s[4:5]
	v_add_u32_e32 v26, 0xfffffc00, v11
	s_mov_b64 s[30:31], 0
	v_add_u32_e32 v27, 0xfffffe00, v12
	v_mov_b32_e32 v28, 0
	s_branch .LBB57_43
.LBB57_42:                              ;   in Loop: Header=BB57_43 Depth=1
	s_or_b64 exec, exec, s[36:37]
	v_add_co_u32_e32 v7, vcc, 0x200, v7
	v_addc_co_u32_e32 v8, vcc, 0, v8, vcc
	s_add_u32 s30, s30, 1
	v_add_co_u32_e32 v5, vcc, 0x1000, v5
	s_addc_u32 s31, s31, 0
	v_mov_b32_e32 v9, s30
	v_addc_co_u32_e32 v6, vcc, 0, v6, vcc
	v_mov_b32_e32 v10, s31
	v_add_co_u32_e32 v3, vcc, 0x100, v3
	v_cmp_le_u64_e64 s[4:5], s[44:45], v[9:10]
	v_addc_co_u32_e32 v4, vcc, 0, v4, vcc
	s_and_b64 vcc, exec, s[4:5]
	s_cbranch_vccnz .LBB57_87
.LBB57_43:                              ; =>This Inner Loop Header: Depth=1
	v_cmp_gt_i64_e32 vcc, s[28:29], v[3:4]
	v_mov_b32_e32 v1, -1
	v_mov_b32_e32 v2, -1
	v_mov_b32_e32 v15, 0
	s_and_saveexec_b64 s[4:5], vcc
	s_cbranch_execz .LBB57_45
; %bb.44:                               ;   in Loop: Header=BB57_43 Depth=1
	global_load_dwordx4 v[29:32], v[5:6], off offset:-8 glc slc
	global_load_ushort v9, v[7:8], off
	v_mov_b32_e32 v10, s35
	s_waitcnt vmcnt(1)
	v_lshlrev_b64 v[1:2], 1, v[31:32]
	s_waitcnt vmcnt(0)
	v_lshlrev_b32_e32 v9, 16, v9
	v_add_co_u32_e32 v1, vcc, s33, v1
	v_addc_co_u32_e32 v2, vcc, v10, v2, vcc
	global_load_ushort v10, v[1:2], off
	v_subrev_co_u32_e32 v1, vcc, s40, v29
	v_subbrev_co_u32_e32 v2, vcc, 0, v30, vcc
	s_waitcnt vmcnt(0)
	v_lshlrev_b32_e32 v10, 16, v10
	v_mul_f32_e32 v15, v9, v10
.LBB57_45:                              ;   in Loop: Header=BB57_43 Depth=1
	s_or_b64 exec, exec, s[4:5]
	s_and_saveexec_b64 s[4:5], s[0:1]
	s_cbranch_execz .LBB57_52
; %bb.46:                               ;   in Loop: Header=BB57_43 Depth=1
	ds_read_b64 v[9:10], v28 offset:2040
	s_waitcnt lgkmcnt(0)
	v_cmp_ne_u64_e32 vcc, v[1:2], v[9:10]
	s_and_saveexec_b64 s[36:37], vcc
	s_xor_b64 s[36:37], exec, s[36:37]
	s_cbranch_execz .LBB57_49
; %bb.47:                               ;   in Loop: Header=BB57_43 Depth=1
	v_cmp_gt_i64_e32 vcc, 0, v[9:10]
	s_cbranch_vccnz .LBB57_49
; %bb.48:                               ;   in Loop: Header=BB57_43 Depth=1
	v_lshlrev_b64 v[9:10], 2, v[9:10]
	v_mov_b32_e32 v29, s43
	v_add_co_u32_e32 v9, vcc, s42, v9
	v_addc_co_u32_e32 v10, vcc, v29, v10, vcc
	global_load_dword v29, v[9:10], off
	ds_read_b32 v30, v28 offset:3068
	s_waitcnt vmcnt(0) lgkmcnt(0)
	v_fmac_f32_e32 v29, s34, v30
	global_store_dword v[9:10], v29, off
.LBB57_49:                              ;   in Loop: Header=BB57_43 Depth=1
	s_andn2_saveexec_b64 s[36:37], s[36:37]
	s_cbranch_execz .LBB57_51
; %bb.50:                               ;   in Loop: Header=BB57_43 Depth=1
	ds_read_b32 v9, v28 offset:3068
	s_waitcnt lgkmcnt(0)
	v_add_f32_e32 v15, v15, v9
.LBB57_51:                              ;   in Loop: Header=BB57_43 Depth=1
	s_or_b64 exec, exec, s[36:37]
.LBB57_52:                              ;   in Loop: Header=BB57_43 Depth=1
	s_or_b64 exec, exec, s[4:5]
	s_waitcnt vmcnt(0) lgkmcnt(0)
	s_barrier
	ds_write_b64 v11, v[1:2]
	ds_write_b32 v12, v15
	s_waitcnt lgkmcnt(0)
	s_barrier
	s_and_saveexec_b64 s[4:5], s[2:3]
	s_cbranch_execz .LBB57_56
; %bb.53:                               ;   in Loop: Header=BB57_43 Depth=1
	ds_read_b64 v[9:10], v13
	s_waitcnt lgkmcnt(0)
	v_cmp_eq_u64_e32 vcc, v[1:2], v[9:10]
	s_and_saveexec_b64 s[36:37], vcc
	s_cbranch_execz .LBB57_55
; %bb.54:                               ;   in Loop: Header=BB57_43 Depth=1
	v_add_u32_e32 v9, -4, v12
	ds_read_b32 v9, v9
	s_waitcnt lgkmcnt(0)
	v_add_f32_e32 v15, v15, v9
.LBB57_55:                              ;   in Loop: Header=BB57_43 Depth=1
	s_or_b64 exec, exec, s[36:37]
.LBB57_56:                              ;   in Loop: Header=BB57_43 Depth=1
	s_or_b64 exec, exec, s[4:5]
	s_barrier
	ds_write_b32 v12, v15
	s_waitcnt lgkmcnt(0)
	s_barrier
	s_and_saveexec_b64 s[4:5], s[22:23]
	s_cbranch_execz .LBB57_60
; %bb.57:                               ;   in Loop: Header=BB57_43 Depth=1
	ds_read_b64 v[9:10], v14
	s_waitcnt lgkmcnt(0)
	v_cmp_eq_u64_e32 vcc, v[1:2], v[9:10]
	s_and_saveexec_b64 s[36:37], vcc
	s_cbranch_execz .LBB57_59
; %bb.58:                               ;   in Loop: Header=BB57_43 Depth=1
	v_add_u32_e32 v9, -8, v12
	ds_read_b32 v9, v9
	s_waitcnt lgkmcnt(0)
	v_add_f32_e32 v15, v15, v9
.LBB57_59:                              ;   in Loop: Header=BB57_43 Depth=1
	s_or_b64 exec, exec, s[36:37]
.LBB57_60:                              ;   in Loop: Header=BB57_43 Depth=1
	s_or_b64 exec, exec, s[4:5]
	s_barrier
	ds_write_b32 v12, v15
	s_waitcnt lgkmcnt(0)
	s_barrier
	s_and_saveexec_b64 s[4:5], s[8:9]
	s_cbranch_execz .LBB57_64
; %bb.61:                               ;   in Loop: Header=BB57_43 Depth=1
	ds_read_b64 v[9:10], v16
	s_waitcnt lgkmcnt(0)
	v_cmp_eq_u64_e32 vcc, v[1:2], v[9:10]
	s_and_saveexec_b64 s[36:37], vcc
	s_cbranch_execz .LBB57_63
; %bb.62:                               ;   in Loop: Header=BB57_43 Depth=1
	ds_read_b32 v9, v18
	s_waitcnt lgkmcnt(0)
	v_add_f32_e32 v15, v15, v9
.LBB57_63:                              ;   in Loop: Header=BB57_43 Depth=1
	s_or_b64 exec, exec, s[36:37]
.LBB57_64:                              ;   in Loop: Header=BB57_43 Depth=1
	s_or_b64 exec, exec, s[4:5]
	s_barrier
	ds_write_b32 v12, v15
	s_waitcnt lgkmcnt(0)
	s_barrier
	s_and_saveexec_b64 s[4:5], s[10:11]
	s_cbranch_execz .LBB57_68
; %bb.65:                               ;   in Loop: Header=BB57_43 Depth=1
	ds_read_b64 v[9:10], v17
	s_waitcnt lgkmcnt(0)
	v_cmp_eq_u64_e32 vcc, v[1:2], v[9:10]
	s_and_saveexec_b64 s[36:37], vcc
	s_cbranch_execz .LBB57_67
; %bb.66:                               ;   in Loop: Header=BB57_43 Depth=1
	ds_read_b32 v9, v19
	s_waitcnt lgkmcnt(0)
	v_add_f32_e32 v15, v15, v9
.LBB57_67:                              ;   in Loop: Header=BB57_43 Depth=1
	s_or_b64 exec, exec, s[36:37]
.LBB57_68:                              ;   in Loop: Header=BB57_43 Depth=1
	;; [unrolled: 20-line block ×6, first 2 shown]
	s_or_b64 exec, exec, s[4:5]
	s_barrier
	ds_write_b32 v12, v15
	s_waitcnt lgkmcnt(0)
	s_barrier
	s_and_saveexec_b64 s[36:37], s[20:21]
	s_cbranch_execz .LBB57_42
; %bb.85:                               ;   in Loop: Header=BB57_43 Depth=1
	ds_read_b64 v[9:10], v11 offset:8
	v_cmp_lt_i64_e64 s[4:5], -1, v[1:2]
	s_waitcnt lgkmcnt(0)
	v_cmp_ne_u64_e32 vcc, v[1:2], v[9:10]
	s_and_b64 s[4:5], s[4:5], vcc
	s_and_b64 exec, exec, s[4:5]
	s_cbranch_execz .LBB57_42
; %bb.86:                               ;   in Loop: Header=BB57_43 Depth=1
	v_lshlrev_b64 v[9:10], 2, v[1:2]
	v_mov_b32_e32 v29, s43
	v_add_co_u32_e32 v9, vcc, s42, v9
	v_addc_co_u32_e32 v10, vcc, v29, v10, vcc
	global_load_dword v29, v[9:10], off
	s_waitcnt vmcnt(0)
	v_fmac_f32_e32 v29, s34, v15
	global_store_dword v[9:10], v29, off
	s_branch .LBB57_42
.LBB57_87:
	s_movk_i32 s0, 0xff
	v_cmp_eq_u32_e32 vcc, s0, v0
	s_and_saveexec_b64 s[0:1], vcc
	s_cbranch_execz .LBB57_89
; %bb.88:
	s_lshl_b64 s[0:1], s[6:7], 3
	s_waitcnt lgkmcnt(0)
	s_add_u32 s0, s24, s0
	s_addc_u32 s1, s25, s1
	s_lshl_b64 s[2:3], s[6:7], 2
	v_mov_b32_e32 v0, 0
	s_add_u32 s2, s26, s2
	v_mul_f32_e32 v3, s34, v15
	s_addc_u32 s3, s27, s3
	global_store_dwordx2 v0, v[1:2], s[0:1] glc slc
	global_store_dword v0, v3, s[2:3] glc slc
.LBB57_89:
	s_endpgm
	.section	.rodata,"a",@progbits
	.p2align	6, 0x0
	.amdhsa_kernel _ZN9rocsparseL26coomvn_aos_segmented_loopsILj256El18rocsparse_bfloat16S1_ffEEvlT0_NS_24const_host_device_scalarIT4_EEPKS2_PKT1_PKT2_PT3_PS2_PS4_21rocsparse_index_base_b
		.amdhsa_group_segment_fixed_size 3072
		.amdhsa_private_segment_fixed_size 0
		.amdhsa_kernarg_size 80
		.amdhsa_user_sgpr_count 6
		.amdhsa_user_sgpr_private_segment_buffer 1
		.amdhsa_user_sgpr_dispatch_ptr 0
		.amdhsa_user_sgpr_queue_ptr 0
		.amdhsa_user_sgpr_kernarg_segment_ptr 1
		.amdhsa_user_sgpr_dispatch_id 0
		.amdhsa_user_sgpr_flat_scratch_init 0
		.amdhsa_user_sgpr_private_segment_size 0
		.amdhsa_uses_dynamic_stack 0
		.amdhsa_system_sgpr_private_segment_wavefront_offset 0
		.amdhsa_system_sgpr_workgroup_id_x 1
		.amdhsa_system_sgpr_workgroup_id_y 0
		.amdhsa_system_sgpr_workgroup_id_z 0
		.amdhsa_system_sgpr_workgroup_info 0
		.amdhsa_system_vgpr_workitem_id 0
		.amdhsa_next_free_vgpr 33
		.amdhsa_next_free_sgpr 48
		.amdhsa_reserve_vcc 1
		.amdhsa_reserve_flat_scratch 0
		.amdhsa_float_round_mode_32 0
		.amdhsa_float_round_mode_16_64 0
		.amdhsa_float_denorm_mode_32 3
		.amdhsa_float_denorm_mode_16_64 3
		.amdhsa_dx10_clamp 1
		.amdhsa_ieee_mode 1
		.amdhsa_fp16_overflow 0
		.amdhsa_exception_fp_ieee_invalid_op 0
		.amdhsa_exception_fp_denorm_src 0
		.amdhsa_exception_fp_ieee_div_zero 0
		.amdhsa_exception_fp_ieee_overflow 0
		.amdhsa_exception_fp_ieee_underflow 0
		.amdhsa_exception_fp_ieee_inexact 0
		.amdhsa_exception_int_div_zero 0
	.end_amdhsa_kernel
	.section	.text._ZN9rocsparseL26coomvn_aos_segmented_loopsILj256El18rocsparse_bfloat16S1_ffEEvlT0_NS_24const_host_device_scalarIT4_EEPKS2_PKT1_PKT2_PT3_PS2_PS4_21rocsparse_index_base_b,"axG",@progbits,_ZN9rocsparseL26coomvn_aos_segmented_loopsILj256El18rocsparse_bfloat16S1_ffEEvlT0_NS_24const_host_device_scalarIT4_EEPKS2_PKT1_PKT2_PT3_PS2_PS4_21rocsparse_index_base_b,comdat
.Lfunc_end57:
	.size	_ZN9rocsparseL26coomvn_aos_segmented_loopsILj256El18rocsparse_bfloat16S1_ffEEvlT0_NS_24const_host_device_scalarIT4_EEPKS2_PKT1_PKT2_PT3_PS2_PS4_21rocsparse_index_base_b, .Lfunc_end57-_ZN9rocsparseL26coomvn_aos_segmented_loopsILj256El18rocsparse_bfloat16S1_ffEEvlT0_NS_24const_host_device_scalarIT4_EEPKS2_PKT1_PKT2_PT3_PS2_PS4_21rocsparse_index_base_b
                                        ; -- End function
	.set _ZN9rocsparseL26coomvn_aos_segmented_loopsILj256El18rocsparse_bfloat16S1_ffEEvlT0_NS_24const_host_device_scalarIT4_EEPKS2_PKT1_PKT2_PT3_PS2_PS4_21rocsparse_index_base_b.num_vgpr, 33
	.set _ZN9rocsparseL26coomvn_aos_segmented_loopsILj256El18rocsparse_bfloat16S1_ffEEvlT0_NS_24const_host_device_scalarIT4_EEPKS2_PKT1_PKT2_PT3_PS2_PS4_21rocsparse_index_base_b.num_agpr, 0
	.set _ZN9rocsparseL26coomvn_aos_segmented_loopsILj256El18rocsparse_bfloat16S1_ffEEvlT0_NS_24const_host_device_scalarIT4_EEPKS2_PKT1_PKT2_PT3_PS2_PS4_21rocsparse_index_base_b.numbered_sgpr, 48
	.set _ZN9rocsparseL26coomvn_aos_segmented_loopsILj256El18rocsparse_bfloat16S1_ffEEvlT0_NS_24const_host_device_scalarIT4_EEPKS2_PKT1_PKT2_PT3_PS2_PS4_21rocsparse_index_base_b.num_named_barrier, 0
	.set _ZN9rocsparseL26coomvn_aos_segmented_loopsILj256El18rocsparse_bfloat16S1_ffEEvlT0_NS_24const_host_device_scalarIT4_EEPKS2_PKT1_PKT2_PT3_PS2_PS4_21rocsparse_index_base_b.private_seg_size, 0
	.set _ZN9rocsparseL26coomvn_aos_segmented_loopsILj256El18rocsparse_bfloat16S1_ffEEvlT0_NS_24const_host_device_scalarIT4_EEPKS2_PKT1_PKT2_PT3_PS2_PS4_21rocsparse_index_base_b.uses_vcc, 1
	.set _ZN9rocsparseL26coomvn_aos_segmented_loopsILj256El18rocsparse_bfloat16S1_ffEEvlT0_NS_24const_host_device_scalarIT4_EEPKS2_PKT1_PKT2_PT3_PS2_PS4_21rocsparse_index_base_b.uses_flat_scratch, 0
	.set _ZN9rocsparseL26coomvn_aos_segmented_loopsILj256El18rocsparse_bfloat16S1_ffEEvlT0_NS_24const_host_device_scalarIT4_EEPKS2_PKT1_PKT2_PT3_PS2_PS4_21rocsparse_index_base_b.has_dyn_sized_stack, 0
	.set _ZN9rocsparseL26coomvn_aos_segmented_loopsILj256El18rocsparse_bfloat16S1_ffEEvlT0_NS_24const_host_device_scalarIT4_EEPKS2_PKT1_PKT2_PT3_PS2_PS4_21rocsparse_index_base_b.has_recursion, 0
	.set _ZN9rocsparseL26coomvn_aos_segmented_loopsILj256El18rocsparse_bfloat16S1_ffEEvlT0_NS_24const_host_device_scalarIT4_EEPKS2_PKT1_PKT2_PT3_PS2_PS4_21rocsparse_index_base_b.has_indirect_call, 0
	.section	.AMDGPU.csdata,"",@progbits
; Kernel info:
; codeLenInByte = 2580
; TotalNumSgprs: 52
; NumVgprs: 33
; ScratchSize: 0
; MemoryBound: 0
; FloatMode: 240
; IeeeMode: 1
; LDSByteSize: 3072 bytes/workgroup (compile time only)
; SGPRBlocks: 6
; VGPRBlocks: 8
; NumSGPRsForWavesPerEU: 52
; NumVGPRsForWavesPerEU: 33
; Occupancy: 7
; WaveLimiterHint : 1
; COMPUTE_PGM_RSRC2:SCRATCH_EN: 0
; COMPUTE_PGM_RSRC2:USER_SGPR: 6
; COMPUTE_PGM_RSRC2:TRAP_HANDLER: 0
; COMPUTE_PGM_RSRC2:TGID_X_EN: 1
; COMPUTE_PGM_RSRC2:TGID_Y_EN: 0
; COMPUTE_PGM_RSRC2:TGID_Z_EN: 0
; COMPUTE_PGM_RSRC2:TIDIG_COMP_CNT: 0
	.section	.text._ZN9rocsparseL23coomvn_aos_atomic_loopsILj256ELj1Eif21rocsparse_complex_numIfES2_S2_EEvlNS_24const_host_device_scalarIT5_EEPKT1_PKT2_PKT3_PT4_21rocsparse_index_base_b,"axG",@progbits,_ZN9rocsparseL23coomvn_aos_atomic_loopsILj256ELj1Eif21rocsparse_complex_numIfES2_S2_EEvlNS_24const_host_device_scalarIT5_EEPKT1_PKT2_PKT3_PT4_21rocsparse_index_base_b,comdat
	.globl	_ZN9rocsparseL23coomvn_aos_atomic_loopsILj256ELj1Eif21rocsparse_complex_numIfES2_S2_EEvlNS_24const_host_device_scalarIT5_EEPKT1_PKT2_PKT3_PT4_21rocsparse_index_base_b ; -- Begin function _ZN9rocsparseL23coomvn_aos_atomic_loopsILj256ELj1Eif21rocsparse_complex_numIfES2_S2_EEvlNS_24const_host_device_scalarIT5_EEPKT1_PKT2_PKT3_PT4_21rocsparse_index_base_b
	.p2align	8
	.type	_ZN9rocsparseL23coomvn_aos_atomic_loopsILj256ELj1Eif21rocsparse_complex_numIfES2_S2_EEvlNS_24const_host_device_scalarIT5_EEPKT1_PKT2_PKT3_PT4_21rocsparse_index_base_b,@function
_ZN9rocsparseL23coomvn_aos_atomic_loopsILj256ELj1Eif21rocsparse_complex_numIfES2_S2_EEvlNS_24const_host_device_scalarIT5_EEPKT1_PKT2_PKT3_PT4_21rocsparse_index_base_b: ; @_ZN9rocsparseL23coomvn_aos_atomic_loopsILj256ELj1Eif21rocsparse_complex_numIfES2_S2_EEvlNS_24const_host_device_scalarIT5_EEPKT1_PKT2_PKT3_PT4_21rocsparse_index_base_b
; %bb.0:
	s_load_dwordx2 s[2:3], s[4:5], 0x30
	s_load_dwordx4 s[8:11], s[4:5], 0x0
	s_or_b32 s0, s4, 8
	s_waitcnt lgkmcnt(0)
	s_bitcmp1_b32 s3, 0
	s_cselect_b32 s1, s5, s11
	s_cselect_b32 s0, s0, s10
	v_mov_b32_e32 v1, s0
	v_mov_b32_e32 v2, s1
	flat_load_dwordx2 v[1:2], v[1:2]
	s_waitcnt vmcnt(0) lgkmcnt(0)
	v_cmp_neq_f32_e32 vcc, 0, v1
	v_cmp_neq_f32_e64 s[0:1], 0, v2
	s_or_b64 s[0:1], vcc, s[0:1]
	s_and_saveexec_b64 s[10:11], s[0:1]
	s_cbranch_execz .LBB58_46
; %bb.1:
	v_lshl_or_b32 v6, s6, 8, v0
	v_mov_b32_e32 v7, 0
	v_cmp_gt_i64_e32 vcc, s[8:9], v[6:7]
	v_mov_b32_e32 v5, -1
	v_mov_b32_e32 v3, v7
	v_mov_b32_e32 v4, v7
	s_and_saveexec_b64 s[0:1], vcc
	s_cbranch_execz .LBB58_3
; %bb.2:
	s_load_dwordx4 s[8:11], s[4:5], 0x10
	s_load_dwordx2 s[6:7], s[4:5], 0x20
	v_lshlrev_b64 v[3:4], 3, v[6:7]
	s_waitcnt lgkmcnt(0)
	v_mov_b32_e32 v5, s9
	v_add_co_u32_e32 v3, vcc, s8, v3
	v_addc_co_u32_e32 v4, vcc, v5, v4, vcc
	global_load_dwordx2 v[3:4], v[3:4], off glc slc
	v_lshlrev_b64 v[5:6], 2, v[6:7]
	v_mov_b32_e32 v7, s11
	v_add_co_u32_e32 v5, vcc, s10, v5
	v_addc_co_u32_e32 v6, vcc, v7, v6, vcc
	v_mov_b32_e32 v9, s7
	s_waitcnt vmcnt(0)
	v_subrev_u32_e32 v7, s2, v4
	v_ashrrev_i32_e32 v8, 31, v7
	v_lshlrev_b64 v[7:8], 3, v[7:8]
	v_add_co_u32_e32 v7, vcc, s6, v7
	v_addc_co_u32_e32 v8, vcc, v9, v8, vcc
	global_load_dwordx2 v[9:10], v[7:8], off
	global_load_dword v11, v[5:6], off glc slc
	v_subrev_u32_e32 v5, s2, v3
	s_waitcnt vmcnt(1)
	v_mul_f32_e32 v3, 0x80000000, v10
	s_waitcnt vmcnt(0)
	v_mul_f32_e32 v4, v11, v10
	v_fmac_f32_e32 v3, v11, v9
	v_fmac_f32_e32 v4, 0, v9
.LBB58_3:
	s_or_b64 exec, exec, s[0:1]
	v_lshlrev_b32_e32 v7, 2, v0
	v_or_b32_e32 v6, 0x800, v7
	ds_write_b32 v7, v5 offset:2048
	v_lshlrev_b32_e32 v7, 3, v0
	v_cmp_ne_u32_e32 vcc, 0, v0
	ds_write_b64 v7, v[3:4]
	s_waitcnt lgkmcnt(0)
	s_barrier
	s_and_saveexec_b64 s[0:1], vcc
	s_cbranch_execz .LBB58_7
; %bb.4:
	v_add_u32_e32 v8, -4, v6
	ds_read_b32 v8, v8
	s_waitcnt lgkmcnt(0)
	v_cmp_eq_u32_e32 vcc, v5, v8
	s_and_saveexec_b64 s[2:3], vcc
	s_cbranch_execz .LBB58_6
; %bb.5:
	v_add_u32_e32 v8, -8, v7
	ds_read_b64 v[8:9], v8
	s_waitcnt lgkmcnt(0)
	v_add_f32_e32 v3, v3, v8
	v_add_f32_e32 v4, v4, v9
.LBB58_6:
	s_or_b64 exec, exec, s[2:3]
.LBB58_7:
	s_or_b64 exec, exec, s[0:1]
	v_cmp_lt_u32_e32 vcc, 1, v0
	s_barrier
	ds_write_b64 v7, v[3:4]
	s_waitcnt lgkmcnt(0)
	s_barrier
	s_and_saveexec_b64 s[0:1], vcc
	s_cbranch_execz .LBB58_11
; %bb.8:
	v_add_u32_e32 v8, -8, v6
	ds_read_b32 v8, v8
	s_waitcnt lgkmcnt(0)
	v_cmp_eq_u32_e32 vcc, v5, v8
	s_and_saveexec_b64 s[2:3], vcc
	s_cbranch_execz .LBB58_10
; %bb.9:
	v_add_u32_e32 v8, -16, v7
	ds_read_b64 v[8:9], v8
	s_waitcnt lgkmcnt(0)
	v_add_f32_e32 v3, v3, v8
	v_add_f32_e32 v4, v4, v9
.LBB58_10:
	s_or_b64 exec, exec, s[2:3]
.LBB58_11:
	s_or_b64 exec, exec, s[0:1]
	v_cmp_lt_u32_e32 vcc, 3, v0
	s_barrier
	ds_write_b64 v7, v[3:4]
	s_waitcnt lgkmcnt(0)
	s_barrier
	s_and_saveexec_b64 s[0:1], vcc
	s_cbranch_execz .LBB58_15
; %bb.12:
	v_add_u32_e32 v8, -16, v6
	ds_read_b32 v8, v8
	s_waitcnt lgkmcnt(0)
	v_cmp_eq_u32_e32 vcc, v5, v8
	s_and_saveexec_b64 s[2:3], vcc
	s_cbranch_execz .LBB58_14
; %bb.13:
	v_subrev_u32_e32 v8, 32, v7
	ds_read_b64 v[8:9], v8
	s_waitcnt lgkmcnt(0)
	v_add_f32_e32 v3, v3, v8
	v_add_f32_e32 v4, v4, v9
.LBB58_14:
	s_or_b64 exec, exec, s[2:3]
.LBB58_15:
	s_or_b64 exec, exec, s[0:1]
	v_cmp_lt_u32_e32 vcc, 7, v0
	s_barrier
	ds_write_b64 v7, v[3:4]
	s_waitcnt lgkmcnt(0)
	s_barrier
	s_and_saveexec_b64 s[0:1], vcc
	s_cbranch_execz .LBB58_19
; %bb.16:
	v_subrev_u32_e32 v8, 32, v6
	ds_read_b32 v8, v8
	s_waitcnt lgkmcnt(0)
	v_cmp_eq_u32_e32 vcc, v5, v8
	s_and_saveexec_b64 s[2:3], vcc
	s_cbranch_execz .LBB58_18
; %bb.17:
	v_subrev_u32_e32 v8, 64, v7
	ds_read_b64 v[8:9], v8
	s_waitcnt lgkmcnt(0)
	v_add_f32_e32 v3, v3, v8
	v_add_f32_e32 v4, v4, v9
.LBB58_18:
	s_or_b64 exec, exec, s[2:3]
.LBB58_19:
	s_or_b64 exec, exec, s[0:1]
	v_cmp_lt_u32_e32 vcc, 15, v0
	s_barrier
	ds_write_b64 v7, v[3:4]
	s_waitcnt lgkmcnt(0)
	s_barrier
	s_and_saveexec_b64 s[0:1], vcc
	s_cbranch_execz .LBB58_23
; %bb.20:
	v_subrev_u32_e32 v8, 64, v6
	ds_read_b32 v8, v8
	s_waitcnt lgkmcnt(0)
	v_cmp_eq_u32_e32 vcc, v5, v8
	s_and_saveexec_b64 s[2:3], vcc
	s_cbranch_execz .LBB58_22
; %bb.21:
	v_add_u32_e32 v8, 0xffffff80, v7
	ds_read_b64 v[8:9], v8
	s_waitcnt lgkmcnt(0)
	v_add_f32_e32 v3, v3, v8
	v_add_f32_e32 v4, v4, v9
.LBB58_22:
	s_or_b64 exec, exec, s[2:3]
.LBB58_23:
	s_or_b64 exec, exec, s[0:1]
	v_cmp_lt_u32_e32 vcc, 31, v0
	s_barrier
	ds_write_b64 v7, v[3:4]
	s_waitcnt lgkmcnt(0)
	s_barrier
	s_and_saveexec_b64 s[0:1], vcc
	s_cbranch_execz .LBB58_27
; %bb.24:
	v_add_u32_e32 v8, 0xffffff80, v6
	ds_read_b32 v8, v8
	s_waitcnt lgkmcnt(0)
	v_cmp_eq_u32_e32 vcc, v5, v8
	s_and_saveexec_b64 s[2:3], vcc
	s_cbranch_execz .LBB58_26
; %bb.25:
	v_add_u32_e32 v8, 0xffffff00, v7
	ds_read_b64 v[8:9], v8
	s_waitcnt lgkmcnt(0)
	v_add_f32_e32 v3, v3, v8
	v_add_f32_e32 v4, v4, v9
.LBB58_26:
	s_or_b64 exec, exec, s[2:3]
.LBB58_27:
	s_or_b64 exec, exec, s[0:1]
	v_cmp_lt_u32_e32 vcc, 63, v0
	s_barrier
	ds_write_b64 v7, v[3:4]
	s_waitcnt lgkmcnt(0)
	s_barrier
	s_and_saveexec_b64 s[0:1], vcc
	s_cbranch_execz .LBB58_31
; %bb.28:
	v_add_u32_e32 v8, 0xffffff00, v6
	ds_read_b32 v8, v8
	s_waitcnt lgkmcnt(0)
	v_cmp_eq_u32_e32 vcc, v5, v8
	s_and_saveexec_b64 s[2:3], vcc
	s_cbranch_execz .LBB58_30
; %bb.29:
	v_add_u32_e32 v8, 0xfffffe00, v7
	ds_read_b64 v[8:9], v8
	s_waitcnt lgkmcnt(0)
	v_add_f32_e32 v3, v3, v8
	v_add_f32_e32 v4, v4, v9
.LBB58_30:
	s_or_b64 exec, exec, s[2:3]
.LBB58_31:
	s_or_b64 exec, exec, s[0:1]
	s_load_dwordx2 s[2:3], s[4:5], 0x28
	s_movk_i32 s0, 0x7f
	v_cmp_lt_u32_e32 vcc, s0, v0
	s_waitcnt lgkmcnt(0)
	s_barrier
	ds_write_b64 v7, v[3:4]
	s_waitcnt lgkmcnt(0)
	s_barrier
	s_and_saveexec_b64 s[0:1], vcc
	s_cbranch_execz .LBB58_35
; %bb.32:
	v_add_u32_e32 v8, 0xfffffe00, v6
	ds_read_b32 v8, v8
	s_waitcnt lgkmcnt(0)
	v_cmp_eq_u32_e32 vcc, v5, v8
	s_and_saveexec_b64 s[4:5], vcc
	s_cbranch_execz .LBB58_34
; %bb.33:
	v_add_u32_e32 v8, 0xfffffc00, v7
	ds_read_b64 v[8:9], v8
	s_waitcnt lgkmcnt(0)
	v_add_f32_e32 v3, v3, v8
	v_add_f32_e32 v4, v4, v9
.LBB58_34:
	s_or_b64 exec, exec, s[4:5]
.LBB58_35:
	s_or_b64 exec, exec, s[0:1]
	s_movk_i32 s6, 0xff
	v_cmp_gt_u32_e32 vcc, s6, v0
	s_barrier
	ds_write_b64 v7, v[3:4]
	s_waitcnt lgkmcnt(0)
	s_barrier
	s_and_saveexec_b64 s[4:5], vcc
	s_cbranch_execz .LBB58_41
; %bb.36:
	ds_read_b32 v6, v6 offset:4
	v_cmp_lt_i32_e64 s[0:1], -1, v5
	s_waitcnt lgkmcnt(0)
	v_cmp_ne_u32_e32 vcc, v5, v6
	s_and_b64 s[0:1], s[0:1], vcc
	s_and_b64 exec, exec, s[0:1]
	s_cbranch_execz .LBB58_41
; %bb.37:
	v_mov_b32_e32 v6, 0
	v_lshlrev_b64 v[6:7], 3, v[5:6]
	v_mov_b32_e32 v8, s3
	v_add_co_u32_e32 v6, vcc, s2, v6
	v_addc_co_u32_e32 v7, vcc, v8, v7, vcc
	global_load_dword v9, v[6:7], off
	v_mul_f32_e64 v10, v4, -v2
	v_fmac_f32_e32 v10, v1, v3
	s_mov_b64 s[0:1], 0
.LBB58_38:                              ; =>This Inner Loop Header: Depth=1
	s_waitcnt vmcnt(0)
	v_add_f32_e32 v8, v9, v10
	global_atomic_cmpswap v8, v[6:7], v[8:9], off glc
	s_waitcnt vmcnt(0)
	v_cmp_eq_u32_e32 vcc, v8, v9
	s_or_b64 s[0:1], vcc, s[0:1]
	v_mov_b32_e32 v9, v8
	s_andn2_b64 exec, exec, s[0:1]
	s_cbranch_execnz .LBB58_38
; %bb.39:
	s_or_b64 exec, exec, s[0:1]
	global_load_dword v9, v[6:7], off offset:4
	v_mul_f32_e32 v10, v1, v4
	v_fmac_f32_e32 v10, v2, v3
	s_mov_b64 s[0:1], 0
.LBB58_40:                              ; =>This Inner Loop Header: Depth=1
	s_waitcnt vmcnt(0)
	v_add_f32_e32 v8, v9, v10
	global_atomic_cmpswap v8, v[6:7], v[8:9], off offset:4 glc
	s_waitcnt vmcnt(0)
	v_cmp_eq_u32_e32 vcc, v8, v9
	s_or_b64 s[0:1], vcc, s[0:1]
	v_mov_b32_e32 v9, v8
	s_andn2_b64 exec, exec, s[0:1]
	s_cbranch_execnz .LBB58_40
.LBB58_41:
	s_or_b64 exec, exec, s[4:5]
	v_cmp_eq_u32_e32 vcc, s6, v0
	v_cmp_lt_i32_e64 s[0:1], -1, v5
	s_and_b64 s[0:1], vcc, s[0:1]
	s_and_b64 exec, exec, s[0:1]
	s_cbranch_execz .LBB58_46
; %bb.42:
	v_mov_b32_e32 v6, 0
	v_lshlrev_b64 v[5:6], 3, v[5:6]
	v_mov_b32_e32 v0, s3
	v_add_co_u32_e32 v5, vcc, s2, v5
	v_addc_co_u32_e32 v6, vcc, v0, v6, vcc
	global_load_dword v8, v[5:6], off
	v_mul_f32_e64 v0, v4, -v2
	v_fmac_f32_e32 v0, v1, v3
	s_mov_b64 s[0:1], 0
.LBB58_43:                              ; =>This Inner Loop Header: Depth=1
	s_waitcnt vmcnt(0)
	v_add_f32_e32 v7, v8, v0
	global_atomic_cmpswap v7, v[5:6], v[7:8], off glc
	s_waitcnt vmcnt(0)
	v_cmp_eq_u32_e32 vcc, v7, v8
	s_or_b64 s[0:1], vcc, s[0:1]
	v_mov_b32_e32 v8, v7
	s_andn2_b64 exec, exec, s[0:1]
	s_cbranch_execnz .LBB58_43
; %bb.44:
	s_or_b64 exec, exec, s[0:1]
	global_load_dword v8, v[5:6], off offset:4
	v_mul_f32_e32 v0, v1, v4
	v_fmac_f32_e32 v0, v2, v3
	s_mov_b64 s[0:1], 0
.LBB58_45:                              ; =>This Inner Loop Header: Depth=1
	s_waitcnt vmcnt(0)
	v_add_f32_e32 v7, v8, v0
	global_atomic_cmpswap v1, v[5:6], v[7:8], off offset:4 glc
	s_waitcnt vmcnt(0)
	v_cmp_eq_u32_e32 vcc, v1, v8
	s_or_b64 s[0:1], vcc, s[0:1]
	v_mov_b32_e32 v8, v1
	s_andn2_b64 exec, exec, s[0:1]
	s_cbranch_execnz .LBB58_45
.LBB58_46:
	s_endpgm
	.section	.rodata,"a",@progbits
	.p2align	6, 0x0
	.amdhsa_kernel _ZN9rocsparseL23coomvn_aos_atomic_loopsILj256ELj1Eif21rocsparse_complex_numIfES2_S2_EEvlNS_24const_host_device_scalarIT5_EEPKT1_PKT2_PKT3_PT4_21rocsparse_index_base_b
		.amdhsa_group_segment_fixed_size 3072
		.amdhsa_private_segment_fixed_size 0
		.amdhsa_kernarg_size 56
		.amdhsa_user_sgpr_count 6
		.amdhsa_user_sgpr_private_segment_buffer 1
		.amdhsa_user_sgpr_dispatch_ptr 0
		.amdhsa_user_sgpr_queue_ptr 0
		.amdhsa_user_sgpr_kernarg_segment_ptr 1
		.amdhsa_user_sgpr_dispatch_id 0
		.amdhsa_user_sgpr_flat_scratch_init 0
		.amdhsa_user_sgpr_private_segment_size 0
		.amdhsa_uses_dynamic_stack 0
		.amdhsa_system_sgpr_private_segment_wavefront_offset 0
		.amdhsa_system_sgpr_workgroup_id_x 1
		.amdhsa_system_sgpr_workgroup_id_y 0
		.amdhsa_system_sgpr_workgroup_id_z 0
		.amdhsa_system_sgpr_workgroup_info 0
		.amdhsa_system_vgpr_workitem_id 0
		.amdhsa_next_free_vgpr 12
		.amdhsa_next_free_sgpr 12
		.amdhsa_reserve_vcc 1
		.amdhsa_reserve_flat_scratch 0
		.amdhsa_float_round_mode_32 0
		.amdhsa_float_round_mode_16_64 0
		.amdhsa_float_denorm_mode_32 3
		.amdhsa_float_denorm_mode_16_64 3
		.amdhsa_dx10_clamp 1
		.amdhsa_ieee_mode 1
		.amdhsa_fp16_overflow 0
		.amdhsa_exception_fp_ieee_invalid_op 0
		.amdhsa_exception_fp_denorm_src 0
		.amdhsa_exception_fp_ieee_div_zero 0
		.amdhsa_exception_fp_ieee_overflow 0
		.amdhsa_exception_fp_ieee_underflow 0
		.amdhsa_exception_fp_ieee_inexact 0
		.amdhsa_exception_int_div_zero 0
	.end_amdhsa_kernel
	.section	.text._ZN9rocsparseL23coomvn_aos_atomic_loopsILj256ELj1Eif21rocsparse_complex_numIfES2_S2_EEvlNS_24const_host_device_scalarIT5_EEPKT1_PKT2_PKT3_PT4_21rocsparse_index_base_b,"axG",@progbits,_ZN9rocsparseL23coomvn_aos_atomic_loopsILj256ELj1Eif21rocsparse_complex_numIfES2_S2_EEvlNS_24const_host_device_scalarIT5_EEPKT1_PKT2_PKT3_PT4_21rocsparse_index_base_b,comdat
.Lfunc_end58:
	.size	_ZN9rocsparseL23coomvn_aos_atomic_loopsILj256ELj1Eif21rocsparse_complex_numIfES2_S2_EEvlNS_24const_host_device_scalarIT5_EEPKT1_PKT2_PKT3_PT4_21rocsparse_index_base_b, .Lfunc_end58-_ZN9rocsparseL23coomvn_aos_atomic_loopsILj256ELj1Eif21rocsparse_complex_numIfES2_S2_EEvlNS_24const_host_device_scalarIT5_EEPKT1_PKT2_PKT3_PT4_21rocsparse_index_base_b
                                        ; -- End function
	.set _ZN9rocsparseL23coomvn_aos_atomic_loopsILj256ELj1Eif21rocsparse_complex_numIfES2_S2_EEvlNS_24const_host_device_scalarIT5_EEPKT1_PKT2_PKT3_PT4_21rocsparse_index_base_b.num_vgpr, 12
	.set _ZN9rocsparseL23coomvn_aos_atomic_loopsILj256ELj1Eif21rocsparse_complex_numIfES2_S2_EEvlNS_24const_host_device_scalarIT5_EEPKT1_PKT2_PKT3_PT4_21rocsparse_index_base_b.num_agpr, 0
	.set _ZN9rocsparseL23coomvn_aos_atomic_loopsILj256ELj1Eif21rocsparse_complex_numIfES2_S2_EEvlNS_24const_host_device_scalarIT5_EEPKT1_PKT2_PKT3_PT4_21rocsparse_index_base_b.numbered_sgpr, 12
	.set _ZN9rocsparseL23coomvn_aos_atomic_loopsILj256ELj1Eif21rocsparse_complex_numIfES2_S2_EEvlNS_24const_host_device_scalarIT5_EEPKT1_PKT2_PKT3_PT4_21rocsparse_index_base_b.num_named_barrier, 0
	.set _ZN9rocsparseL23coomvn_aos_atomic_loopsILj256ELj1Eif21rocsparse_complex_numIfES2_S2_EEvlNS_24const_host_device_scalarIT5_EEPKT1_PKT2_PKT3_PT4_21rocsparse_index_base_b.private_seg_size, 0
	.set _ZN9rocsparseL23coomvn_aos_atomic_loopsILj256ELj1Eif21rocsparse_complex_numIfES2_S2_EEvlNS_24const_host_device_scalarIT5_EEPKT1_PKT2_PKT3_PT4_21rocsparse_index_base_b.uses_vcc, 1
	.set _ZN9rocsparseL23coomvn_aos_atomic_loopsILj256ELj1Eif21rocsparse_complex_numIfES2_S2_EEvlNS_24const_host_device_scalarIT5_EEPKT1_PKT2_PKT3_PT4_21rocsparse_index_base_b.uses_flat_scratch, 0
	.set _ZN9rocsparseL23coomvn_aos_atomic_loopsILj256ELj1Eif21rocsparse_complex_numIfES2_S2_EEvlNS_24const_host_device_scalarIT5_EEPKT1_PKT2_PKT3_PT4_21rocsparse_index_base_b.has_dyn_sized_stack, 0
	.set _ZN9rocsparseL23coomvn_aos_atomic_loopsILj256ELj1Eif21rocsparse_complex_numIfES2_S2_EEvlNS_24const_host_device_scalarIT5_EEPKT1_PKT2_PKT3_PT4_21rocsparse_index_base_b.has_recursion, 0
	.set _ZN9rocsparseL23coomvn_aos_atomic_loopsILj256ELj1Eif21rocsparse_complex_numIfES2_S2_EEvlNS_24const_host_device_scalarIT5_EEPKT1_PKT2_PKT3_PT4_21rocsparse_index_base_b.has_indirect_call, 0
	.section	.AMDGPU.csdata,"",@progbits
; Kernel info:
; codeLenInByte = 1476
; TotalNumSgprs: 16
; NumVgprs: 12
; ScratchSize: 0
; MemoryBound: 0
; FloatMode: 240
; IeeeMode: 1
; LDSByteSize: 3072 bytes/workgroup (compile time only)
; SGPRBlocks: 1
; VGPRBlocks: 2
; NumSGPRsForWavesPerEU: 16
; NumVGPRsForWavesPerEU: 12
; Occupancy: 10
; WaveLimiterHint : 1
; COMPUTE_PGM_RSRC2:SCRATCH_EN: 0
; COMPUTE_PGM_RSRC2:USER_SGPR: 6
; COMPUTE_PGM_RSRC2:TRAP_HANDLER: 0
; COMPUTE_PGM_RSRC2:TGID_X_EN: 1
; COMPUTE_PGM_RSRC2:TGID_Y_EN: 0
; COMPUTE_PGM_RSRC2:TGID_Z_EN: 0
; COMPUTE_PGM_RSRC2:TIDIG_COMP_CNT: 0
	.section	.text._ZN9rocsparseL17coomvt_aos_kernelILj1024Eif21rocsparse_complex_numIfES2_S2_EEv20rocsparse_operation_lNS_24const_host_device_scalarIT4_EEPKT0_PKT1_PKT2_PT3_21rocsparse_index_base_b,"axG",@progbits,_ZN9rocsparseL17coomvt_aos_kernelILj1024Eif21rocsparse_complex_numIfES2_S2_EEv20rocsparse_operation_lNS_24const_host_device_scalarIT4_EEPKT0_PKT1_PKT2_PT3_21rocsparse_index_base_b,comdat
	.globl	_ZN9rocsparseL17coomvt_aos_kernelILj1024Eif21rocsparse_complex_numIfES2_S2_EEv20rocsparse_operation_lNS_24const_host_device_scalarIT4_EEPKT0_PKT1_PKT2_PT3_21rocsparse_index_base_b ; -- Begin function _ZN9rocsparseL17coomvt_aos_kernelILj1024Eif21rocsparse_complex_numIfES2_S2_EEv20rocsparse_operation_lNS_24const_host_device_scalarIT4_EEPKT0_PKT1_PKT2_PT3_21rocsparse_index_base_b
	.p2align	8
	.type	_ZN9rocsparseL17coomvt_aos_kernelILj1024Eif21rocsparse_complex_numIfES2_S2_EEv20rocsparse_operation_lNS_24const_host_device_scalarIT4_EEPKT0_PKT1_PKT2_PT3_21rocsparse_index_base_b,@function
_ZN9rocsparseL17coomvt_aos_kernelILj1024Eif21rocsparse_complex_numIfES2_S2_EEv20rocsparse_operation_lNS_24const_host_device_scalarIT4_EEPKT0_PKT1_PKT2_PT3_21rocsparse_index_base_b: ; @_ZN9rocsparseL17coomvt_aos_kernelILj1024Eif21rocsparse_complex_numIfES2_S2_EEv20rocsparse_operation_lNS_24const_host_device_scalarIT4_EEPKT0_PKT1_PKT2_PT3_21rocsparse_index_base_b
; %bb.0:
	s_load_dwordx2 s[2:3], s[4:5], 0x38
	s_load_dwordx4 s[8:11], s[4:5], 0x8
	s_add_u32 s0, s4, 16
	s_addc_u32 s1, s5, 0
	s_waitcnt lgkmcnt(0)
	s_bitcmp1_b32 s3, 0
	s_cselect_b32 s1, s1, s11
	s_cselect_b32 s0, s0, s10
	v_mov_b32_e32 v1, s0
	v_mov_b32_e32 v2, s1
	flat_load_dwordx2 v[1:2], v[1:2]
	s_waitcnt vmcnt(0) lgkmcnt(0)
	v_cmp_neq_f32_e32 vcc, 0, v1
	v_cmp_neq_f32_e64 s[0:1], 0, v2
	s_or_b64 s[0:1], vcc, s[0:1]
	s_and_saveexec_b64 s[10:11], s[0:1]
	s_cbranch_execz .LBB59_6
; %bb.1:
	s_load_dword s0, s[4:5], 0x4c
	v_mov_b32_e32 v4, 0
	s_waitcnt lgkmcnt(0)
	s_and_b32 s0, s0, 0xffff
	s_mul_i32 s6, s6, s0
	v_add_u32_e32 v3, s6, v0
	v_cmp_gt_i64_e32 vcc, s[8:9], v[3:4]
	s_and_b64 exec, exec, vcc
	s_cbranch_execz .LBB59_6
; %bb.2:
	s_load_dwordx8 s[8:15], s[4:5], 0x18
	v_lshlrev_b64 v[5:6], 3, v[3:4]
	v_lshlrev_b64 v[3:4], 2, v[3:4]
	s_mov_b64 s[0:1], 0
	s_waitcnt lgkmcnt(0)
	v_mov_b32_e32 v0, s9
	v_add_co_u32_e32 v5, vcc, s8, v5
	v_addc_co_u32_e32 v6, vcc, v0, v6, vcc
	global_load_dwordx2 v[5:6], v[5:6], off
	v_mov_b32_e32 v0, s11
	v_add_co_u32_e32 v3, vcc, s10, v3
	v_addc_co_u32_e32 v4, vcc, v0, v4, vcc
	global_load_dword v11, v[3:4], off
	v_mov_b32_e32 v10, s13
	v_mov_b32_e32 v9, s15
	v_mul_f32_e32 v0, 0x80000000, v2
	s_waitcnt vmcnt(1)
	v_subrev_u32_e32 v3, s2, v5
	v_ashrrev_i32_e32 v4, 31, v3
	v_subrev_u32_e32 v5, s2, v6
	v_lshlrev_b64 v[3:4], 3, v[3:4]
	v_ashrrev_i32_e32 v6, 31, v5
	v_lshlrev_b64 v[7:8], 3, v[5:6]
	v_add_co_u32_e32 v3, vcc, s12, v3
	v_addc_co_u32_e32 v4, vcc, v10, v4, vcc
	global_load_dwordx2 v[5:6], v[3:4], off
	v_add_co_u32_e32 v3, vcc, s14, v7
	v_addc_co_u32_e32 v4, vcc, v9, v8, vcc
	global_load_dword v8, v[3:4], off
	v_mul_f32_e32 v9, 0, v1
	s_waitcnt vmcnt(2)
	v_fmac_f32_e32 v9, v2, v11
	v_fmac_f32_e32 v0, v1, v11
	s_waitcnt vmcnt(1)
	v_mul_f32_e64 v1, v6, -v9
	v_fmac_f32_e32 v1, v0, v5
.LBB59_3:                               ; =>This Inner Loop Header: Depth=1
	s_waitcnt vmcnt(0)
	v_add_f32_e32 v7, v8, v1
	global_atomic_cmpswap v2, v[3:4], v[7:8], off glc
	s_waitcnt vmcnt(0)
	v_cmp_eq_u32_e32 vcc, v2, v8
	s_or_b64 s[0:1], vcc, s[0:1]
	v_mov_b32_e32 v8, v2
	s_andn2_b64 exec, exec, s[0:1]
	s_cbranch_execnz .LBB59_3
; %bb.4:
	s_or_b64 exec, exec, s[0:1]
	global_load_dword v1, v[3:4], off offset:4
	v_mul_f32_e32 v2, v0, v6
	v_fmac_f32_e32 v2, v9, v5
	s_mov_b64 s[0:1], 0
.LBB59_5:                               ; =>This Inner Loop Header: Depth=1
	s_waitcnt vmcnt(0)
	v_add_f32_e32 v0, v1, v2
	global_atomic_cmpswap v0, v[3:4], v[0:1], off offset:4 glc
	s_waitcnt vmcnt(0)
	v_cmp_eq_u32_e32 vcc, v0, v1
	s_or_b64 s[0:1], vcc, s[0:1]
	v_mov_b32_e32 v1, v0
	s_andn2_b64 exec, exec, s[0:1]
	s_cbranch_execnz .LBB59_5
.LBB59_6:
	s_endpgm
	.section	.rodata,"a",@progbits
	.p2align	6, 0x0
	.amdhsa_kernel _ZN9rocsparseL17coomvt_aos_kernelILj1024Eif21rocsparse_complex_numIfES2_S2_EEv20rocsparse_operation_lNS_24const_host_device_scalarIT4_EEPKT0_PKT1_PKT2_PT3_21rocsparse_index_base_b
		.amdhsa_group_segment_fixed_size 0
		.amdhsa_private_segment_fixed_size 0
		.amdhsa_kernarg_size 320
		.amdhsa_user_sgpr_count 6
		.amdhsa_user_sgpr_private_segment_buffer 1
		.amdhsa_user_sgpr_dispatch_ptr 0
		.amdhsa_user_sgpr_queue_ptr 0
		.amdhsa_user_sgpr_kernarg_segment_ptr 1
		.amdhsa_user_sgpr_dispatch_id 0
		.amdhsa_user_sgpr_flat_scratch_init 0
		.amdhsa_user_sgpr_private_segment_size 0
		.amdhsa_uses_dynamic_stack 0
		.amdhsa_system_sgpr_private_segment_wavefront_offset 0
		.amdhsa_system_sgpr_workgroup_id_x 1
		.amdhsa_system_sgpr_workgroup_id_y 0
		.amdhsa_system_sgpr_workgroup_id_z 0
		.amdhsa_system_sgpr_workgroup_info 0
		.amdhsa_system_vgpr_workitem_id 0
		.amdhsa_next_free_vgpr 12
		.amdhsa_next_free_sgpr 16
		.amdhsa_reserve_vcc 1
		.amdhsa_reserve_flat_scratch 0
		.amdhsa_float_round_mode_32 0
		.amdhsa_float_round_mode_16_64 0
		.amdhsa_float_denorm_mode_32 3
		.amdhsa_float_denorm_mode_16_64 3
		.amdhsa_dx10_clamp 1
		.amdhsa_ieee_mode 1
		.amdhsa_fp16_overflow 0
		.amdhsa_exception_fp_ieee_invalid_op 0
		.amdhsa_exception_fp_denorm_src 0
		.amdhsa_exception_fp_ieee_div_zero 0
		.amdhsa_exception_fp_ieee_overflow 0
		.amdhsa_exception_fp_ieee_underflow 0
		.amdhsa_exception_fp_ieee_inexact 0
		.amdhsa_exception_int_div_zero 0
	.end_amdhsa_kernel
	.section	.text._ZN9rocsparseL17coomvt_aos_kernelILj1024Eif21rocsparse_complex_numIfES2_S2_EEv20rocsparse_operation_lNS_24const_host_device_scalarIT4_EEPKT0_PKT1_PKT2_PT3_21rocsparse_index_base_b,"axG",@progbits,_ZN9rocsparseL17coomvt_aos_kernelILj1024Eif21rocsparse_complex_numIfES2_S2_EEv20rocsparse_operation_lNS_24const_host_device_scalarIT4_EEPKT0_PKT1_PKT2_PT3_21rocsparse_index_base_b,comdat
.Lfunc_end59:
	.size	_ZN9rocsparseL17coomvt_aos_kernelILj1024Eif21rocsparse_complex_numIfES2_S2_EEv20rocsparse_operation_lNS_24const_host_device_scalarIT4_EEPKT0_PKT1_PKT2_PT3_21rocsparse_index_base_b, .Lfunc_end59-_ZN9rocsparseL17coomvt_aos_kernelILj1024Eif21rocsparse_complex_numIfES2_S2_EEv20rocsparse_operation_lNS_24const_host_device_scalarIT4_EEPKT0_PKT1_PKT2_PT3_21rocsparse_index_base_b
                                        ; -- End function
	.set _ZN9rocsparseL17coomvt_aos_kernelILj1024Eif21rocsparse_complex_numIfES2_S2_EEv20rocsparse_operation_lNS_24const_host_device_scalarIT4_EEPKT0_PKT1_PKT2_PT3_21rocsparse_index_base_b.num_vgpr, 12
	.set _ZN9rocsparseL17coomvt_aos_kernelILj1024Eif21rocsparse_complex_numIfES2_S2_EEv20rocsparse_operation_lNS_24const_host_device_scalarIT4_EEPKT0_PKT1_PKT2_PT3_21rocsparse_index_base_b.num_agpr, 0
	.set _ZN9rocsparseL17coomvt_aos_kernelILj1024Eif21rocsparse_complex_numIfES2_S2_EEv20rocsparse_operation_lNS_24const_host_device_scalarIT4_EEPKT0_PKT1_PKT2_PT3_21rocsparse_index_base_b.numbered_sgpr, 16
	.set _ZN9rocsparseL17coomvt_aos_kernelILj1024Eif21rocsparse_complex_numIfES2_S2_EEv20rocsparse_operation_lNS_24const_host_device_scalarIT4_EEPKT0_PKT1_PKT2_PT3_21rocsparse_index_base_b.num_named_barrier, 0
	.set _ZN9rocsparseL17coomvt_aos_kernelILj1024Eif21rocsparse_complex_numIfES2_S2_EEv20rocsparse_operation_lNS_24const_host_device_scalarIT4_EEPKT0_PKT1_PKT2_PT3_21rocsparse_index_base_b.private_seg_size, 0
	.set _ZN9rocsparseL17coomvt_aos_kernelILj1024Eif21rocsparse_complex_numIfES2_S2_EEv20rocsparse_operation_lNS_24const_host_device_scalarIT4_EEPKT0_PKT1_PKT2_PT3_21rocsparse_index_base_b.uses_vcc, 1
	.set _ZN9rocsparseL17coomvt_aos_kernelILj1024Eif21rocsparse_complex_numIfES2_S2_EEv20rocsparse_operation_lNS_24const_host_device_scalarIT4_EEPKT0_PKT1_PKT2_PT3_21rocsparse_index_base_b.uses_flat_scratch, 0
	.set _ZN9rocsparseL17coomvt_aos_kernelILj1024Eif21rocsparse_complex_numIfES2_S2_EEv20rocsparse_operation_lNS_24const_host_device_scalarIT4_EEPKT0_PKT1_PKT2_PT3_21rocsparse_index_base_b.has_dyn_sized_stack, 0
	.set _ZN9rocsparseL17coomvt_aos_kernelILj1024Eif21rocsparse_complex_numIfES2_S2_EEv20rocsparse_operation_lNS_24const_host_device_scalarIT4_EEPKT0_PKT1_PKT2_PT3_21rocsparse_index_base_b.has_recursion, 0
	.set _ZN9rocsparseL17coomvt_aos_kernelILj1024Eif21rocsparse_complex_numIfES2_S2_EEv20rocsparse_operation_lNS_24const_host_device_scalarIT4_EEPKT0_PKT1_PKT2_PT3_21rocsparse_index_base_b.has_indirect_call, 0
	.section	.AMDGPU.csdata,"",@progbits
; Kernel info:
; codeLenInByte = 424
; TotalNumSgprs: 20
; NumVgprs: 12
; ScratchSize: 0
; MemoryBound: 0
; FloatMode: 240
; IeeeMode: 1
; LDSByteSize: 0 bytes/workgroup (compile time only)
; SGPRBlocks: 2
; VGPRBlocks: 2
; NumSGPRsForWavesPerEU: 20
; NumVGPRsForWavesPerEU: 12
; Occupancy: 10
; WaveLimiterHint : 1
; COMPUTE_PGM_RSRC2:SCRATCH_EN: 0
; COMPUTE_PGM_RSRC2:USER_SGPR: 6
; COMPUTE_PGM_RSRC2:TRAP_HANDLER: 0
; COMPUTE_PGM_RSRC2:TGID_X_EN: 1
; COMPUTE_PGM_RSRC2:TGID_Y_EN: 0
; COMPUTE_PGM_RSRC2:TGID_Z_EN: 0
; COMPUTE_PGM_RSRC2:TIDIG_COMP_CNT: 0
	.section	.text._ZN9rocsparseL26coomvn_aos_segmented_loopsILj256Eif21rocsparse_complex_numIfES2_S2_EEvlT0_NS_24const_host_device_scalarIT4_EEPKS3_PKT1_PKT2_PT3_PS3_PS5_21rocsparse_index_base_b,"axG",@progbits,_ZN9rocsparseL26coomvn_aos_segmented_loopsILj256Eif21rocsparse_complex_numIfES2_S2_EEvlT0_NS_24const_host_device_scalarIT4_EEPKS3_PKT1_PKT2_PT3_PS3_PS5_21rocsparse_index_base_b,comdat
	.globl	_ZN9rocsparseL26coomvn_aos_segmented_loopsILj256Eif21rocsparse_complex_numIfES2_S2_EEvlT0_NS_24const_host_device_scalarIT4_EEPKS3_PKT1_PKT2_PT3_PS3_PS5_21rocsparse_index_base_b ; -- Begin function _ZN9rocsparseL26coomvn_aos_segmented_loopsILj256Eif21rocsparse_complex_numIfES2_S2_EEvlT0_NS_24const_host_device_scalarIT4_EEPKS3_PKT1_PKT2_PT3_PS3_PS5_21rocsparse_index_base_b
	.p2align	8
	.type	_ZN9rocsparseL26coomvn_aos_segmented_loopsILj256Eif21rocsparse_complex_numIfES2_S2_EEvlT0_NS_24const_host_device_scalarIT4_EEPKS3_PKT1_PKT2_PT3_PS3_PS5_21rocsparse_index_base_b,@function
_ZN9rocsparseL26coomvn_aos_segmented_loopsILj256Eif21rocsparse_complex_numIfES2_S2_EEvlT0_NS_24const_host_device_scalarIT4_EEPKS3_PKT1_PKT2_PT3_PS3_PS5_21rocsparse_index_base_b: ; @_ZN9rocsparseL26coomvn_aos_segmented_loopsILj256Eif21rocsparse_complex_numIfES2_S2_EEvlT0_NS_24const_host_device_scalarIT4_EEPKS3_PKT1_PKT2_PT3_PS3_PS5_21rocsparse_index_base_b
; %bb.0:
	s_load_dwordx2 s[34:35], s[4:5], 0x48
	s_load_dwordx2 s[0:1], s[4:5], 0x10
	s_add_u32 s2, s4, 16
	s_addc_u32 s3, s5, 0
	s_waitcnt lgkmcnt(0)
	s_bitcmp1_b32 s35, 0
	s_cselect_b32 s1, s3, s1
	s_cselect_b32 s0, s2, s0
	v_mov_b32_e32 v1, s0
	v_mov_b32_e32 v2, s1
	flat_load_dwordx2 v[1:2], v[1:2]
	s_waitcnt vmcnt(0) lgkmcnt(0)
	v_cmp_neq_f32_e32 vcc, 0, v1
	v_cmp_neq_f32_e64 s[0:1], 0, v2
	s_or_b64 s[0:1], vcc, s[0:1]
	s_and_saveexec_b64 s[2:3], s[0:1]
	s_cbranch_execz .LBB60_87
; %bb.1:
	s_load_dword s42, s[4:5], 0x8
	s_load_dwordx2 s[36:37], s[4:5], 0x0
	s_load_dwordx4 s[28:31], s[4:5], 0x18
	s_load_dwordx2 s[40:41], s[4:5], 0x28
	v_mov_b32_e32 v12, 0
	s_waitcnt lgkmcnt(0)
	s_mul_i32 s0, s6, s42
	v_lshl_or_b32 v11, s0, 8, v0
	v_cmp_gt_i64_e32 vcc, s[36:37], v[11:12]
	v_lshlrev_b64 v[7:8], 3, v[11:12]
	v_lshlrev_b64 v[9:10], 2, v[11:12]
	v_mov_b32_e32 v3, -1
	v_mov_b32_e32 v5, v12
	v_mov_b32_e32 v6, v12
	s_and_saveexec_b64 s[0:1], vcc
	s_cbranch_execz .LBB60_3
; %bb.2:
	v_mov_b32_e32 v4, s29
	v_add_co_u32_e32 v3, vcc, s28, v7
	v_addc_co_u32_e32 v4, vcc, v4, v8, vcc
	global_load_dwordx2 v[3:4], v[3:4], off glc slc
	v_mov_b32_e32 v6, s31
	v_add_co_u32_e32 v5, vcc, s30, v9
	v_addc_co_u32_e32 v6, vcc, v6, v10, vcc
	v_mov_b32_e32 v14, s41
	s_ashr_i32 s35, s34, 31
	s_lshl_b64 s[2:3], s[34:35], 3
	v_mov_b32_e32 v15, s3
	s_waitcnt vmcnt(0)
	v_ashrrev_i32_e32 v13, 31, v4
	v_mov_b32_e32 v12, v4
	v_lshlrev_b64 v[12:13], 3, v[12:13]
	v_subrev_u32_e32 v3, s34, v3
	v_add_co_u32_e32 v4, vcc, s40, v12
	v_addc_co_u32_e32 v13, vcc, v14, v13, vcc
	v_subrev_co_u32_e32 v12, vcc, s2, v4
	v_subb_co_u32_e32 v13, vcc, v13, v15, vcc
	global_load_dwordx2 v[14:15], v[12:13], off
	global_load_dword v4, v[5:6], off glc slc
	s_waitcnt vmcnt(1)
	v_mul_f32_e32 v5, 0x80000000, v15
	s_waitcnt vmcnt(0)
	v_mul_f32_e32 v6, v4, v15
	v_fmac_f32_e32 v5, v4, v14
	v_fmac_f32_e32 v6, 0, v14
.LBB60_3:
	s_or_b64 exec, exec, s[0:1]
	v_lshlrev_b32_e32 v4, 2, v0
	v_or_b32_e32 v13, 0x800, v4
	v_lshlrev_b32_e32 v14, 3, v0
	v_cmp_eq_u32_e64 s[0:1], 0, v0
	v_cmp_ne_u32_e64 s[2:3], 0, v0
	v_add_u32_e32 v15, -4, v13
	ds_write_b32 v4, v3 offset:2048
	ds_write_b64 v14, v[5:6]
	s_waitcnt lgkmcnt(0)
	s_barrier
	s_and_saveexec_b64 s[8:9], s[2:3]
	s_cbranch_execz .LBB60_7
; %bb.4:
	ds_read_b32 v4, v15
	s_waitcnt lgkmcnt(0)
	v_cmp_eq_u32_e32 vcc, v3, v4
	s_and_saveexec_b64 s[10:11], vcc
	s_cbranch_execz .LBB60_6
; %bb.5:
	v_add_u32_e32 v4, -8, v14
	ds_read_b64 v[16:17], v4
	s_waitcnt lgkmcnt(0)
	v_add_f32_e32 v5, v5, v16
	v_add_f32_e32 v6, v6, v17
.LBB60_6:
	s_or_b64 exec, exec, s[10:11]
.LBB60_7:
	s_or_b64 exec, exec, s[8:9]
	v_cmp_lt_u32_e64 s[22:23], 1, v0
	v_add_u32_e32 v16, -8, v13
	s_barrier
	ds_write_b64 v14, v[5:6]
	s_waitcnt lgkmcnt(0)
	s_barrier
	s_and_saveexec_b64 s[8:9], s[22:23]
	s_cbranch_execz .LBB60_11
; %bb.8:
	ds_read_b32 v4, v16
	s_waitcnt lgkmcnt(0)
	v_cmp_eq_u32_e32 vcc, v3, v4
	s_and_saveexec_b64 s[10:11], vcc
	s_cbranch_execz .LBB60_10
; %bb.9:
	v_add_u32_e32 v4, -16, v14
	ds_read_b64 v[17:18], v4
	s_waitcnt lgkmcnt(0)
	v_add_f32_e32 v5, v5, v17
	v_add_f32_e32 v6, v6, v18
.LBB60_10:
	s_or_b64 exec, exec, s[10:11]
.LBB60_11:
	s_or_b64 exec, exec, s[8:9]
	v_cmp_lt_u32_e64 s[8:9], 3, v0
	v_add_u32_e32 v17, -16, v13
	s_barrier
	ds_write_b64 v14, v[5:6]
	s_waitcnt lgkmcnt(0)
	s_barrier
	s_and_saveexec_b64 s[10:11], s[8:9]
	s_cbranch_execz .LBB60_15
; %bb.12:
	ds_read_b32 v4, v17
	s_waitcnt lgkmcnt(0)
	v_cmp_eq_u32_e32 vcc, v3, v4
	s_and_saveexec_b64 s[12:13], vcc
	s_cbranch_execz .LBB60_14
; %bb.13:
	v_subrev_u32_e32 v4, 32, v14
	ds_read_b64 v[18:19], v4
	s_waitcnt lgkmcnt(0)
	v_add_f32_e32 v5, v5, v18
	v_add_f32_e32 v6, v6, v19
.LBB60_14:
	s_or_b64 exec, exec, s[12:13]
.LBB60_15:
	s_or_b64 exec, exec, s[10:11]
	v_cmp_lt_u32_e64 s[10:11], 7, v0
	v_subrev_u32_e32 v18, 32, v13
	s_barrier
	ds_write_b64 v14, v[5:6]
	s_waitcnt lgkmcnt(0)
	s_barrier
	s_and_saveexec_b64 s[12:13], s[10:11]
	s_cbranch_execz .LBB60_19
; %bb.16:
	ds_read_b32 v4, v18
	s_waitcnt lgkmcnt(0)
	v_cmp_eq_u32_e32 vcc, v3, v4
	s_and_saveexec_b64 s[14:15], vcc
	s_cbranch_execz .LBB60_18
; %bb.17:
	v_subrev_u32_e32 v4, 64, v14
	ds_read_b64 v[19:20], v4
	s_waitcnt lgkmcnt(0)
	v_add_f32_e32 v5, v5, v19
	v_add_f32_e32 v6, v6, v20
.LBB60_18:
	s_or_b64 exec, exec, s[14:15]
.LBB60_19:
	s_or_b64 exec, exec, s[12:13]
	v_cmp_lt_u32_e64 s[12:13], 15, v0
	v_subrev_u32_e32 v19, 64, v13
	s_barrier
	ds_write_b64 v14, v[5:6]
	s_waitcnt lgkmcnt(0)
	s_barrier
	s_and_saveexec_b64 s[14:15], s[12:13]
	s_cbranch_execz .LBB60_23
; %bb.20:
	ds_read_b32 v4, v19
	s_waitcnt lgkmcnt(0)
	v_cmp_eq_u32_e32 vcc, v3, v4
	s_and_saveexec_b64 s[16:17], vcc
	s_cbranch_execz .LBB60_22
; %bb.21:
	v_add_u32_e32 v4, 0xffffff80, v14
	ds_read_b64 v[20:21], v4
	s_waitcnt lgkmcnt(0)
	v_add_f32_e32 v5, v5, v20
	v_add_f32_e32 v6, v6, v21
.LBB60_22:
	s_or_b64 exec, exec, s[16:17]
.LBB60_23:
	s_or_b64 exec, exec, s[14:15]
	v_cmp_lt_u32_e64 s[14:15], 31, v0
	s_barrier
	ds_write_b64 v14, v[5:6]
	s_waitcnt lgkmcnt(0)
	s_barrier
	s_and_saveexec_b64 s[16:17], s[14:15]
	s_cbranch_execz .LBB60_27
; %bb.24:
	v_add_u32_e32 v4, 0xffffff80, v13
	ds_read_b32 v4, v4
	s_waitcnt lgkmcnt(0)
	v_cmp_eq_u32_e32 vcc, v3, v4
	s_and_saveexec_b64 s[18:19], vcc
	s_cbranch_execz .LBB60_26
; %bb.25:
	v_add_u32_e32 v4, 0xffffff00, v14
	ds_read_b64 v[20:21], v4
	s_waitcnt lgkmcnt(0)
	v_add_f32_e32 v5, v5, v20
	v_add_f32_e32 v6, v6, v21
.LBB60_26:
	s_or_b64 exec, exec, s[18:19]
.LBB60_27:
	s_or_b64 exec, exec, s[16:17]
	v_cmp_lt_u32_e64 s[16:17], 63, v0
	s_barrier
	ds_write_b64 v14, v[5:6]
	s_waitcnt lgkmcnt(0)
	s_barrier
	s_and_saveexec_b64 s[18:19], s[16:17]
	s_cbranch_execz .LBB60_31
; %bb.28:
	v_add_u32_e32 v4, 0xffffff00, v13
	ds_read_b32 v4, v4
	s_waitcnt lgkmcnt(0)
	v_cmp_eq_u32_e32 vcc, v3, v4
	s_and_saveexec_b64 s[20:21], vcc
	s_cbranch_execz .LBB60_30
; %bb.29:
	v_add_u32_e32 v4, 0xfffffe00, v14
	ds_read_b64 v[20:21], v4
	s_waitcnt lgkmcnt(0)
	v_add_f32_e32 v5, v5, v20
	v_add_f32_e32 v6, v6, v21
.LBB60_30:
	s_or_b64 exec, exec, s[20:21]
.LBB60_31:
	s_or_b64 exec, exec, s[18:19]
	s_load_dwordx2 s[38:39], s[4:5], 0x30
	s_movk_i32 s7, 0x7f
	v_cmp_lt_u32_e64 s[18:19], s7, v0
	s_waitcnt lgkmcnt(0)
	s_barrier
	ds_write_b64 v14, v[5:6]
	s_waitcnt lgkmcnt(0)
	s_barrier
	s_and_saveexec_b64 s[20:21], s[18:19]
	s_cbranch_execz .LBB60_35
; %bb.32:
	v_add_u32_e32 v4, 0xfffffe00, v13
	ds_read_b32 v4, v4
	s_waitcnt lgkmcnt(0)
	v_cmp_eq_u32_e32 vcc, v3, v4
	s_and_saveexec_b64 s[24:25], vcc
	s_cbranch_execz .LBB60_34
; %bb.33:
	v_add_u32_e32 v4, 0xfffffc00, v14
	ds_read_b64 v[20:21], v4
	s_waitcnt lgkmcnt(0)
	v_add_f32_e32 v5, v5, v20
	v_add_f32_e32 v6, v6, v21
.LBB60_34:
	s_or_b64 exec, exec, s[24:25]
.LBB60_35:
	s_or_b64 exec, exec, s[20:21]
	s_movk_i32 s7, 0xff
	v_cmp_gt_u32_e64 s[20:21], s7, v0
	s_barrier
	ds_write_b64 v14, v[5:6]
	s_waitcnt lgkmcnt(0)
	s_barrier
	s_and_saveexec_b64 s[26:27], s[20:21]
	s_cbranch_execz .LBB60_38
; %bb.36:
	ds_read_b32 v4, v13 offset:4
	v_cmp_lt_i32_e64 s[24:25], -1, v3
	s_waitcnt lgkmcnt(0)
	v_cmp_ne_u32_e32 vcc, v3, v4
	s_and_b64 s[24:25], s[24:25], vcc
	s_and_b64 exec, exec, s[24:25]
	s_cbranch_execz .LBB60_38
; %bb.37:
	v_mov_b32_e32 v4, 0
	v_lshlrev_b64 v[20:21], 3, v[3:4]
	v_mov_b32_e32 v4, s39
	v_add_co_u32_e32 v20, vcc, s38, v20
	v_addc_co_u32_e32 v21, vcc, v4, v21, vcc
	global_load_dwordx2 v[22:23], v[20:21], off
	s_waitcnt vmcnt(0)
	v_fma_f32 v4, v1, v5, v22
	v_fmac_f32_e32 v23, v2, v5
	v_fma_f32 v22, -v2, v6, v4
	v_fmac_f32_e32 v23, v1, v6
	global_store_dwordx2 v[20:21], v[22:23], off
.LBB60_38:
	s_or_b64 exec, exec, s[26:27]
	s_load_dwordx4 s[24:27], s[4:5], 0x38
	s_cmp_lt_i32 s42, 2
	s_cbranch_scc1 .LBB60_85
; %bb.39:
	v_mov_b32_e32 v3, s31
	v_add_co_u32_e32 v4, vcc, s30, v9
	s_ashr_i32 s35, s34, 31
	v_addc_co_u32_e32 v3, vcc, v3, v10, vcc
	s_lshl_b64 s[4:5], s[34:35], 3
	v_mov_b32_e32 v5, s29
	v_add_co_u32_e32 v6, vcc, s28, v7
	s_sub_u32 s7, s40, s4
	v_addc_co_u32_e32 v5, vcc, v5, v8, vcc
	s_movk_i32 s4, 0x400
	v_add_co_u32_e32 v7, vcc, s4, v4
	v_addc_co_u32_e32 v8, vcc, 0, v3, vcc
	s_movk_i32 s4, 0x800
	v_add_co_u32_e32 v9, vcc, s4, v6
	;; [unrolled: 3-line block ×3, first 2 shown]
	s_subb_u32 s33, s41, s5
	v_add_u32_e32 v20, 0xffffff80, v14
	v_add_u32_e32 v21, 0xffffff80, v13
	;; [unrolled: 1-line block ×7, first 2 shown]
	v_addc_co_u32_e64 v12, s[4:5], 0, 0, vcc
	s_add_i32 s35, s42, -1
	s_mov_b32 s29, 0
	v_mov_b32_e32 v4, 0
	s_branch .LBB60_41
.LBB60_40:                              ;   in Loop: Header=BB60_41 Depth=1
	s_or_b64 exec, exec, s[30:31]
	v_add_co_u32_e32 v7, vcc, 0x400, v7
	v_addc_co_u32_e32 v8, vcc, 0, v8, vcc
	v_add_co_u32_e32 v9, vcc, 0x800, v9
	v_addc_co_u32_e32 v10, vcc, 0, v10, vcc
	v_add_co_u32_e32 v11, vcc, 0x100, v11
	s_add_i32 s35, s35, -1
	s_cmp_eq_u32 s35, 0
	v_addc_co_u32_e32 v12, vcc, 0, v12, vcc
	s_cbranch_scc1 .LBB60_85
.LBB60_41:                              ; =>This Inner Loop Header: Depth=1
	v_cmp_gt_i64_e32 vcc, s[36:37], v[11:12]
	v_mov_b32_e32 v3, -1
	v_mov_b32_e32 v5, 0
	v_mov_b32_e32 v6, 0
	s_and_saveexec_b64 s[4:5], vcc
	s_cbranch_execz .LBB60_43
; %bb.42:                               ;   in Loop: Header=BB60_41 Depth=1
	global_load_dwordx2 v[5:6], v[9:10], off glc slc
	v_mov_b32_e32 v3, s33
	s_waitcnt vmcnt(0)
	v_ashrrev_i32_e32 v28, 31, v6
	v_mov_b32_e32 v27, v6
	v_lshlrev_b64 v[27:28], 3, v[27:28]
	v_add_co_u32_e32 v27, vcc, s7, v27
	v_addc_co_u32_e32 v28, vcc, v3, v28, vcc
	global_load_dwordx2 v[29:30], v[27:28], off
	global_load_dword v31, v[7:8], off glc slc
	v_subrev_u32_e32 v3, s34, v5
	s_waitcnt vmcnt(1)
	v_mul_f32_e32 v5, 0x80000000, v30
	s_waitcnt vmcnt(0)
	v_mul_f32_e32 v6, v31, v30
	v_fmac_f32_e32 v5, v31, v29
	v_fmac_f32_e32 v6, 0, v29
.LBB60_43:                              ;   in Loop: Header=BB60_41 Depth=1
	s_or_b64 exec, exec, s[4:5]
	s_and_saveexec_b64 s[4:5], s[0:1]
	s_cbranch_execz .LBB60_50
; %bb.44:                               ;   in Loop: Header=BB60_41 Depth=1
	ds_read_b32 v27, v4 offset:3068
	s_waitcnt lgkmcnt(0)
	v_readfirstlane_b32 s28, v27
	v_cmp_ne_u32_e32 vcc, v3, v27
	s_and_saveexec_b64 s[30:31], vcc
	s_xor_b64 s[30:31], exec, s[30:31]
	s_cbranch_execz .LBB60_47
; %bb.45:                               ;   in Loop: Header=BB60_41 Depth=1
	s_cmp_lt_i32 s28, 0
	s_cbranch_scc1 .LBB60_47
; %bb.46:                               ;   in Loop: Header=BB60_41 Depth=1
	s_lshl_b64 s[40:41], s[28:29], 3
	s_add_u32 s40, s38, s40
	s_addc_u32 s41, s39, s41
	global_load_dwordx2 v[27:28], v4, s[40:41]
	ds_read_b64 v[29:30], v4 offset:2040
	s_waitcnt vmcnt(0) lgkmcnt(0)
	v_fma_f32 v27, v1, v29, v27
	v_fmac_f32_e32 v28, v2, v29
	v_fma_f32 v27, -v2, v30, v27
	v_fmac_f32_e32 v28, v1, v30
	global_store_dwordx2 v4, v[27:28], s[40:41]
.LBB60_47:                              ;   in Loop: Header=BB60_41 Depth=1
	s_andn2_saveexec_b64 s[30:31], s[30:31]
	s_cbranch_execz .LBB60_49
; %bb.48:                               ;   in Loop: Header=BB60_41 Depth=1
	ds_read_b64 v[27:28], v4 offset:2040
	s_waitcnt lgkmcnt(0)
	v_add_f32_e32 v5, v5, v27
	v_add_f32_e32 v6, v6, v28
.LBB60_49:                              ;   in Loop: Header=BB60_41 Depth=1
	s_or_b64 exec, exec, s[30:31]
.LBB60_50:                              ;   in Loop: Header=BB60_41 Depth=1
	s_or_b64 exec, exec, s[4:5]
	s_waitcnt vmcnt(0) lgkmcnt(0)
	s_barrier
	ds_write_b32 v13, v3
	ds_write_b64 v14, v[5:6]
	s_waitcnt lgkmcnt(0)
	s_barrier
	s_and_saveexec_b64 s[4:5], s[2:3]
	s_cbranch_execz .LBB60_54
; %bb.51:                               ;   in Loop: Header=BB60_41 Depth=1
	ds_read_b32 v27, v15
	s_waitcnt lgkmcnt(0)
	v_cmp_eq_u32_e32 vcc, v3, v27
	s_and_saveexec_b64 s[30:31], vcc
	s_cbranch_execz .LBB60_53
; %bb.52:                               ;   in Loop: Header=BB60_41 Depth=1
	v_add_u32_e32 v27, -8, v14
	ds_read_b64 v[27:28], v27
	s_waitcnt lgkmcnt(0)
	v_add_f32_e32 v5, v5, v27
	v_add_f32_e32 v6, v6, v28
.LBB60_53:                              ;   in Loop: Header=BB60_41 Depth=1
	s_or_b64 exec, exec, s[30:31]
.LBB60_54:                              ;   in Loop: Header=BB60_41 Depth=1
	s_or_b64 exec, exec, s[4:5]
	s_barrier
	ds_write_b64 v14, v[5:6]
	s_waitcnt lgkmcnt(0)
	s_barrier
	s_and_saveexec_b64 s[4:5], s[22:23]
	s_cbranch_execz .LBB60_58
; %bb.55:                               ;   in Loop: Header=BB60_41 Depth=1
	ds_read_b32 v27, v16
	s_waitcnt lgkmcnt(0)
	v_cmp_eq_u32_e32 vcc, v3, v27
	s_and_saveexec_b64 s[30:31], vcc
	s_cbranch_execz .LBB60_57
; %bb.56:                               ;   in Loop: Header=BB60_41 Depth=1
	v_add_u32_e32 v27, -16, v14
	ds_read_b64 v[27:28], v27
	s_waitcnt lgkmcnt(0)
	v_add_f32_e32 v5, v5, v27
	v_add_f32_e32 v6, v6, v28
.LBB60_57:                              ;   in Loop: Header=BB60_41 Depth=1
	s_or_b64 exec, exec, s[30:31]
.LBB60_58:                              ;   in Loop: Header=BB60_41 Depth=1
	s_or_b64 exec, exec, s[4:5]
	s_barrier
	ds_write_b64 v14, v[5:6]
	s_waitcnt lgkmcnt(0)
	s_barrier
	s_and_saveexec_b64 s[4:5], s[8:9]
	s_cbranch_execz .LBB60_62
; %bb.59:                               ;   in Loop: Header=BB60_41 Depth=1
	ds_read_b32 v27, v17
	s_waitcnt lgkmcnt(0)
	v_cmp_eq_u32_e32 vcc, v3, v27
	s_and_saveexec_b64 s[30:31], vcc
	s_cbranch_execz .LBB60_61
; %bb.60:                               ;   in Loop: Header=BB60_41 Depth=1
	v_subrev_u32_e32 v27, 32, v14
	ds_read_b64 v[27:28], v27
	s_waitcnt lgkmcnt(0)
	v_add_f32_e32 v5, v5, v27
	v_add_f32_e32 v6, v6, v28
.LBB60_61:                              ;   in Loop: Header=BB60_41 Depth=1
	s_or_b64 exec, exec, s[30:31]
.LBB60_62:                              ;   in Loop: Header=BB60_41 Depth=1
	s_or_b64 exec, exec, s[4:5]
	s_barrier
	ds_write_b64 v14, v[5:6]
	s_waitcnt lgkmcnt(0)
	s_barrier
	s_and_saveexec_b64 s[4:5], s[10:11]
	s_cbranch_execz .LBB60_66
; %bb.63:                               ;   in Loop: Header=BB60_41 Depth=1
	ds_read_b32 v27, v18
	s_waitcnt lgkmcnt(0)
	v_cmp_eq_u32_e32 vcc, v3, v27
	s_and_saveexec_b64 s[30:31], vcc
	s_cbranch_execz .LBB60_65
; %bb.64:                               ;   in Loop: Header=BB60_41 Depth=1
	v_subrev_u32_e32 v27, 64, v14
	ds_read_b64 v[27:28], v27
	s_waitcnt lgkmcnt(0)
	v_add_f32_e32 v5, v5, v27
	v_add_f32_e32 v6, v6, v28
.LBB60_65:                              ;   in Loop: Header=BB60_41 Depth=1
	s_or_b64 exec, exec, s[30:31]
.LBB60_66:                              ;   in Loop: Header=BB60_41 Depth=1
	s_or_b64 exec, exec, s[4:5]
	s_barrier
	ds_write_b64 v14, v[5:6]
	s_waitcnt lgkmcnt(0)
	s_barrier
	s_and_saveexec_b64 s[4:5], s[12:13]
	s_cbranch_execz .LBB60_70
; %bb.67:                               ;   in Loop: Header=BB60_41 Depth=1
	ds_read_b32 v27, v19
	s_waitcnt lgkmcnt(0)
	v_cmp_eq_u32_e32 vcc, v3, v27
	s_and_saveexec_b64 s[30:31], vcc
	s_cbranch_execz .LBB60_69
; %bb.68:                               ;   in Loop: Header=BB60_41 Depth=1
	ds_read_b64 v[27:28], v20
	s_waitcnt lgkmcnt(0)
	v_add_f32_e32 v5, v5, v27
	v_add_f32_e32 v6, v6, v28
.LBB60_69:                              ;   in Loop: Header=BB60_41 Depth=1
	s_or_b64 exec, exec, s[30:31]
.LBB60_70:                              ;   in Loop: Header=BB60_41 Depth=1
	s_or_b64 exec, exec, s[4:5]
	s_barrier
	ds_write_b64 v14, v[5:6]
	s_waitcnt lgkmcnt(0)
	s_barrier
	s_and_saveexec_b64 s[4:5], s[14:15]
	s_cbranch_execz .LBB60_74
; %bb.71:                               ;   in Loop: Header=BB60_41 Depth=1
	ds_read_b32 v27, v21
	s_waitcnt lgkmcnt(0)
	v_cmp_eq_u32_e32 vcc, v3, v27
	s_and_saveexec_b64 s[30:31], vcc
	s_cbranch_execz .LBB60_73
; %bb.72:                               ;   in Loop: Header=BB60_41 Depth=1
	ds_read_b64 v[27:28], v22
	s_waitcnt lgkmcnt(0)
	v_add_f32_e32 v5, v5, v27
	v_add_f32_e32 v6, v6, v28
.LBB60_73:                              ;   in Loop: Header=BB60_41 Depth=1
	s_or_b64 exec, exec, s[30:31]
.LBB60_74:                              ;   in Loop: Header=BB60_41 Depth=1
	;; [unrolled: 21-line block ×4, first 2 shown]
	s_or_b64 exec, exec, s[4:5]
	s_barrier
	ds_write_b64 v14, v[5:6]
	s_waitcnt lgkmcnt(0)
	s_barrier
	s_and_saveexec_b64 s[30:31], s[20:21]
	s_cbranch_execz .LBB60_40
; %bb.83:                               ;   in Loop: Header=BB60_41 Depth=1
	ds_read_b32 v27, v13 offset:4
	v_cmp_lt_i32_e64 s[4:5], -1, v3
	s_waitcnt lgkmcnt(0)
	v_cmp_ne_u32_e32 vcc, v3, v27
	s_and_b64 s[4:5], s[4:5], vcc
	s_and_b64 exec, exec, s[4:5]
	s_cbranch_execz .LBB60_40
; %bb.84:                               ;   in Loop: Header=BB60_41 Depth=1
	v_lshlrev_b64 v[27:28], 3, v[3:4]
	v_mov_b32_e32 v29, s39
	v_add_co_u32_e32 v27, vcc, s38, v27
	v_addc_co_u32_e32 v28, vcc, v29, v28, vcc
	global_load_dwordx2 v[29:30], v[27:28], off
	s_waitcnt vmcnt(0)
	v_fma_f32 v29, v1, v5, v29
	v_fmac_f32_e32 v30, v2, v5
	v_fma_f32 v29, -v2, v6, v29
	v_fmac_f32_e32 v30, v1, v6
	global_store_dwordx2 v[27:28], v[29:30], off
	s_branch .LBB60_40
.LBB60_85:
	s_movk_i32 s0, 0xff
	v_cmp_eq_u32_e32 vcc, s0, v0
	s_and_b64 exec, exec, vcc
	s_cbranch_execz .LBB60_87
; %bb.86:
	s_mov_b32 s7, 0
	s_lshl_b64 s[0:1], s[6:7], 3
	s_waitcnt lgkmcnt(0)
	s_add_u32 s0, s26, s0
	s_addc_u32 s1, s27, s1
	s_lshl_b64 s[2:3], s[6:7], 2
	s_add_u32 s2, s24, s2
	v_mov_b32_e32 v0, 0
	v_mul_f32_e32 v7, v1, v6
	v_mul_f32_e64 v6, v6, -v2
	s_addc_u32 s3, s25, s3
	v_fmac_f32_e32 v7, v2, v5
	v_fmac_f32_e32 v6, v1, v5
	global_store_dword v0, v3, s[2:3] glc slc
	global_store_dwordx2 v0, v[6:7], s[0:1] glc slc
.LBB60_87:
	s_endpgm
	.section	.rodata,"a",@progbits
	.p2align	6, 0x0
	.amdhsa_kernel _ZN9rocsparseL26coomvn_aos_segmented_loopsILj256Eif21rocsparse_complex_numIfES2_S2_EEvlT0_NS_24const_host_device_scalarIT4_EEPKS3_PKT1_PKT2_PT3_PS3_PS5_21rocsparse_index_base_b
		.amdhsa_group_segment_fixed_size 3072
		.amdhsa_private_segment_fixed_size 0
		.amdhsa_kernarg_size 80
		.amdhsa_user_sgpr_count 6
		.amdhsa_user_sgpr_private_segment_buffer 1
		.amdhsa_user_sgpr_dispatch_ptr 0
		.amdhsa_user_sgpr_queue_ptr 0
		.amdhsa_user_sgpr_kernarg_segment_ptr 1
		.amdhsa_user_sgpr_dispatch_id 0
		.amdhsa_user_sgpr_flat_scratch_init 0
		.amdhsa_user_sgpr_private_segment_size 0
		.amdhsa_uses_dynamic_stack 0
		.amdhsa_system_sgpr_private_segment_wavefront_offset 0
		.amdhsa_system_sgpr_workgroup_id_x 1
		.amdhsa_system_sgpr_workgroup_id_y 0
		.amdhsa_system_sgpr_workgroup_id_z 0
		.amdhsa_system_sgpr_workgroup_info 0
		.amdhsa_system_vgpr_workitem_id 0
		.amdhsa_next_free_vgpr 32
		.amdhsa_next_free_sgpr 43
		.amdhsa_reserve_vcc 1
		.amdhsa_reserve_flat_scratch 0
		.amdhsa_float_round_mode_32 0
		.amdhsa_float_round_mode_16_64 0
		.amdhsa_float_denorm_mode_32 3
		.amdhsa_float_denorm_mode_16_64 3
		.amdhsa_dx10_clamp 1
		.amdhsa_ieee_mode 1
		.amdhsa_fp16_overflow 0
		.amdhsa_exception_fp_ieee_invalid_op 0
		.amdhsa_exception_fp_denorm_src 0
		.amdhsa_exception_fp_ieee_div_zero 0
		.amdhsa_exception_fp_ieee_overflow 0
		.amdhsa_exception_fp_ieee_underflow 0
		.amdhsa_exception_fp_ieee_inexact 0
		.amdhsa_exception_int_div_zero 0
	.end_amdhsa_kernel
	.section	.text._ZN9rocsparseL26coomvn_aos_segmented_loopsILj256Eif21rocsparse_complex_numIfES2_S2_EEvlT0_NS_24const_host_device_scalarIT4_EEPKS3_PKT1_PKT2_PT3_PS3_PS5_21rocsparse_index_base_b,"axG",@progbits,_ZN9rocsparseL26coomvn_aos_segmented_loopsILj256Eif21rocsparse_complex_numIfES2_S2_EEvlT0_NS_24const_host_device_scalarIT4_EEPKS3_PKT1_PKT2_PT3_PS3_PS5_21rocsparse_index_base_b,comdat
.Lfunc_end60:
	.size	_ZN9rocsparseL26coomvn_aos_segmented_loopsILj256Eif21rocsparse_complex_numIfES2_S2_EEvlT0_NS_24const_host_device_scalarIT4_EEPKS3_PKT1_PKT2_PT3_PS3_PS5_21rocsparse_index_base_b, .Lfunc_end60-_ZN9rocsparseL26coomvn_aos_segmented_loopsILj256Eif21rocsparse_complex_numIfES2_S2_EEvlT0_NS_24const_host_device_scalarIT4_EEPKS3_PKT1_PKT2_PT3_PS3_PS5_21rocsparse_index_base_b
                                        ; -- End function
	.set _ZN9rocsparseL26coomvn_aos_segmented_loopsILj256Eif21rocsparse_complex_numIfES2_S2_EEvlT0_NS_24const_host_device_scalarIT4_EEPKS3_PKT1_PKT2_PT3_PS3_PS5_21rocsparse_index_base_b.num_vgpr, 32
	.set _ZN9rocsparseL26coomvn_aos_segmented_loopsILj256Eif21rocsparse_complex_numIfES2_S2_EEvlT0_NS_24const_host_device_scalarIT4_EEPKS3_PKT1_PKT2_PT3_PS3_PS5_21rocsparse_index_base_b.num_agpr, 0
	.set _ZN9rocsparseL26coomvn_aos_segmented_loopsILj256Eif21rocsparse_complex_numIfES2_S2_EEvlT0_NS_24const_host_device_scalarIT4_EEPKS3_PKT1_PKT2_PT3_PS3_PS5_21rocsparse_index_base_b.numbered_sgpr, 43
	.set _ZN9rocsparseL26coomvn_aos_segmented_loopsILj256Eif21rocsparse_complex_numIfES2_S2_EEvlT0_NS_24const_host_device_scalarIT4_EEPKS3_PKT1_PKT2_PT3_PS3_PS5_21rocsparse_index_base_b.num_named_barrier, 0
	.set _ZN9rocsparseL26coomvn_aos_segmented_loopsILj256Eif21rocsparse_complex_numIfES2_S2_EEvlT0_NS_24const_host_device_scalarIT4_EEPKS3_PKT1_PKT2_PT3_PS3_PS5_21rocsparse_index_base_b.private_seg_size, 0
	.set _ZN9rocsparseL26coomvn_aos_segmented_loopsILj256Eif21rocsparse_complex_numIfES2_S2_EEvlT0_NS_24const_host_device_scalarIT4_EEPKS3_PKT1_PKT2_PT3_PS3_PS5_21rocsparse_index_base_b.uses_vcc, 1
	.set _ZN9rocsparseL26coomvn_aos_segmented_loopsILj256Eif21rocsparse_complex_numIfES2_S2_EEvlT0_NS_24const_host_device_scalarIT4_EEPKS3_PKT1_PKT2_PT3_PS3_PS5_21rocsparse_index_base_b.uses_flat_scratch, 0
	.set _ZN9rocsparseL26coomvn_aos_segmented_loopsILj256Eif21rocsparse_complex_numIfES2_S2_EEvlT0_NS_24const_host_device_scalarIT4_EEPKS3_PKT1_PKT2_PT3_PS3_PS5_21rocsparse_index_base_b.has_dyn_sized_stack, 0
	.set _ZN9rocsparseL26coomvn_aos_segmented_loopsILj256Eif21rocsparse_complex_numIfES2_S2_EEvlT0_NS_24const_host_device_scalarIT4_EEPKS3_PKT1_PKT2_PT3_PS3_PS5_21rocsparse_index_base_b.has_recursion, 0
	.set _ZN9rocsparseL26coomvn_aos_segmented_loopsILj256Eif21rocsparse_complex_numIfES2_S2_EEvlT0_NS_24const_host_device_scalarIT4_EEPKS3_PKT1_PKT2_PT3_PS3_PS5_21rocsparse_index_base_b.has_indirect_call, 0
	.section	.AMDGPU.csdata,"",@progbits
; Kernel info:
; codeLenInByte = 2676
; TotalNumSgprs: 47
; NumVgprs: 32
; ScratchSize: 0
; MemoryBound: 0
; FloatMode: 240
; IeeeMode: 1
; LDSByteSize: 3072 bytes/workgroup (compile time only)
; SGPRBlocks: 5
; VGPRBlocks: 7
; NumSGPRsForWavesPerEU: 47
; NumVGPRsForWavesPerEU: 32
; Occupancy: 8
; WaveLimiterHint : 1
; COMPUTE_PGM_RSRC2:SCRATCH_EN: 0
; COMPUTE_PGM_RSRC2:USER_SGPR: 6
; COMPUTE_PGM_RSRC2:TRAP_HANDLER: 0
; COMPUTE_PGM_RSRC2:TGID_X_EN: 1
; COMPUTE_PGM_RSRC2:TGID_Y_EN: 0
; COMPUTE_PGM_RSRC2:TGID_Z_EN: 0
; COMPUTE_PGM_RSRC2:TIDIG_COMP_CNT: 0
	.section	.text._ZN9rocsparseL23coomvn_aos_atomic_loopsILj256ELj1Elf21rocsparse_complex_numIfES2_S2_EEvlNS_24const_host_device_scalarIT5_EEPKT1_PKT2_PKT3_PT4_21rocsparse_index_base_b,"axG",@progbits,_ZN9rocsparseL23coomvn_aos_atomic_loopsILj256ELj1Elf21rocsparse_complex_numIfES2_S2_EEvlNS_24const_host_device_scalarIT5_EEPKT1_PKT2_PKT3_PT4_21rocsparse_index_base_b,comdat
	.globl	_ZN9rocsparseL23coomvn_aos_atomic_loopsILj256ELj1Elf21rocsparse_complex_numIfES2_S2_EEvlNS_24const_host_device_scalarIT5_EEPKT1_PKT2_PKT3_PT4_21rocsparse_index_base_b ; -- Begin function _ZN9rocsparseL23coomvn_aos_atomic_loopsILj256ELj1Elf21rocsparse_complex_numIfES2_S2_EEvlNS_24const_host_device_scalarIT5_EEPKT1_PKT2_PKT3_PT4_21rocsparse_index_base_b
	.p2align	8
	.type	_ZN9rocsparseL23coomvn_aos_atomic_loopsILj256ELj1Elf21rocsparse_complex_numIfES2_S2_EEvlNS_24const_host_device_scalarIT5_EEPKT1_PKT2_PKT3_PT4_21rocsparse_index_base_b,@function
_ZN9rocsparseL23coomvn_aos_atomic_loopsILj256ELj1Elf21rocsparse_complex_numIfES2_S2_EEvlNS_24const_host_device_scalarIT5_EEPKT1_PKT2_PKT3_PT4_21rocsparse_index_base_b: ; @_ZN9rocsparseL23coomvn_aos_atomic_loopsILj256ELj1Elf21rocsparse_complex_numIfES2_S2_EEvlNS_24const_host_device_scalarIT5_EEPKT1_PKT2_PKT3_PT4_21rocsparse_index_base_b
; %bb.0:
	s_load_dwordx2 s[2:3], s[4:5], 0x30
	s_load_dwordx4 s[8:11], s[4:5], 0x0
	s_or_b32 s0, s4, 8
	s_waitcnt lgkmcnt(0)
	s_bitcmp1_b32 s3, 0
	s_cselect_b32 s1, s5, s11
	s_cselect_b32 s0, s0, s10
	v_mov_b32_e32 v1, s0
	v_mov_b32_e32 v2, s1
	flat_load_dwordx2 v[1:2], v[1:2]
	s_waitcnt vmcnt(0) lgkmcnt(0)
	v_cmp_neq_f32_e32 vcc, 0, v1
	v_cmp_neq_f32_e64 s[0:1], 0, v2
	s_or_b64 s[0:1], vcc, s[0:1]
	s_and_saveexec_b64 s[10:11], s[0:1]
	s_cbranch_execz .LBB61_46
; %bb.1:
	v_lshl_or_b32 v7, s6, 8, v0
	v_mov_b32_e32 v8, 0
	v_cmp_gt_i64_e32 vcc, s[8:9], v[7:8]
	v_mov_b32_e32 v5, -1
	v_mov_b32_e32 v6, -1
	v_mov_b32_e32 v3, v8
	v_mov_b32_e32 v4, v8
	s_and_saveexec_b64 s[0:1], vcc
	s_cbranch_execz .LBB61_3
; %bb.2:
	s_load_dwordx4 s[8:11], s[4:5], 0x10
	s_load_dwordx2 s[6:7], s[4:5], 0x20
	v_lshlrev_b64 v[3:4], 4, v[7:8]
	v_lshlrev_b64 v[7:8], 2, v[7:8]
	s_waitcnt lgkmcnt(0)
	v_mov_b32_e32 v5, s9
	v_add_co_u32_e32 v3, vcc, s8, v3
	v_addc_co_u32_e32 v4, vcc, v5, v4, vcc
	global_load_dwordx4 v[3:6], v[3:4], off glc slc
	v_mov_b32_e32 v9, s11
	v_add_co_u32_e32 v7, vcc, s10, v7
	v_addc_co_u32_e32 v8, vcc, v9, v8, vcc
	v_mov_b32_e32 v10, s7
	s_waitcnt vmcnt(0)
	v_subrev_co_u32_e32 v5, vcc, s2, v5
	v_subbrev_co_u32_e32 v6, vcc, 0, v6, vcc
	v_lshlrev_b64 v[5:6], 3, v[5:6]
	v_add_co_u32_e32 v5, vcc, s6, v5
	v_addc_co_u32_e32 v6, vcc, v10, v6, vcc
	global_load_dwordx2 v[9:10], v[5:6], off
	global_load_dword v11, v[7:8], off glc slc
	v_subrev_co_u32_e32 v5, vcc, s2, v3
	v_subbrev_co_u32_e32 v6, vcc, 0, v4, vcc
	s_waitcnt vmcnt(1)
	v_mul_f32_e32 v3, 0x80000000, v10
	s_waitcnt vmcnt(0)
	v_mul_f32_e32 v4, v11, v10
	v_fmac_f32_e32 v3, v11, v9
	v_fmac_f32_e32 v4, 0, v9
.LBB61_3:
	s_or_b64 exec, exec, s[0:1]
	v_lshlrev_b32_e32 v7, 3, v0
	v_or_b32_e32 v8, 0x800, v7
	v_cmp_ne_u32_e32 vcc, 0, v0
	ds_write2st64_b64 v7, v[5:6], v[3:4] offset1:4
	s_waitcnt lgkmcnt(0)
	s_barrier
	s_and_saveexec_b64 s[0:1], vcc
	s_cbranch_execz .LBB61_7
; %bb.4:
	v_add_u32_e32 v9, -8, v7
	ds_read_b64 v[9:10], v9
	s_waitcnt lgkmcnt(0)
	v_cmp_eq_u64_e32 vcc, v[5:6], v[9:10]
	s_and_saveexec_b64 s[2:3], vcc
	s_cbranch_execz .LBB61_6
; %bb.5:
	v_add_u32_e32 v9, -8, v8
	ds_read_b64 v[9:10], v9
	s_waitcnt lgkmcnt(0)
	v_add_f32_e32 v3, v3, v9
	v_add_f32_e32 v4, v4, v10
.LBB61_6:
	s_or_b64 exec, exec, s[2:3]
.LBB61_7:
	s_or_b64 exec, exec, s[0:1]
	v_cmp_lt_u32_e32 vcc, 1, v0
	s_barrier
	ds_write_b64 v8, v[3:4]
	s_waitcnt lgkmcnt(0)
	s_barrier
	s_and_saveexec_b64 s[0:1], vcc
	s_cbranch_execz .LBB61_11
; %bb.8:
	v_add_u32_e32 v9, -16, v7
	ds_read_b64 v[9:10], v9
	s_waitcnt lgkmcnt(0)
	v_cmp_eq_u64_e32 vcc, v[5:6], v[9:10]
	s_and_saveexec_b64 s[2:3], vcc
	s_cbranch_execz .LBB61_10
; %bb.9:
	v_add_u32_e32 v9, -16, v8
	ds_read_b64 v[9:10], v9
	s_waitcnt lgkmcnt(0)
	v_add_f32_e32 v3, v3, v9
	v_add_f32_e32 v4, v4, v10
.LBB61_10:
	s_or_b64 exec, exec, s[2:3]
.LBB61_11:
	s_or_b64 exec, exec, s[0:1]
	v_cmp_lt_u32_e32 vcc, 3, v0
	s_barrier
	ds_write_b64 v8, v[3:4]
	s_waitcnt lgkmcnt(0)
	s_barrier
	s_and_saveexec_b64 s[0:1], vcc
	s_cbranch_execz .LBB61_15
; %bb.12:
	v_subrev_u32_e32 v9, 32, v7
	ds_read_b64 v[9:10], v9
	s_waitcnt lgkmcnt(0)
	v_cmp_eq_u64_e32 vcc, v[5:6], v[9:10]
	s_and_saveexec_b64 s[2:3], vcc
	s_cbranch_execz .LBB61_14
; %bb.13:
	v_subrev_u32_e32 v9, 32, v8
	ds_read_b64 v[9:10], v9
	s_waitcnt lgkmcnt(0)
	v_add_f32_e32 v3, v3, v9
	v_add_f32_e32 v4, v4, v10
.LBB61_14:
	s_or_b64 exec, exec, s[2:3]
.LBB61_15:
	s_or_b64 exec, exec, s[0:1]
	v_cmp_lt_u32_e32 vcc, 7, v0
	s_barrier
	ds_write_b64 v8, v[3:4]
	s_waitcnt lgkmcnt(0)
	s_barrier
	s_and_saveexec_b64 s[0:1], vcc
	s_cbranch_execz .LBB61_19
; %bb.16:
	v_subrev_u32_e32 v9, 64, v7
	ds_read_b64 v[9:10], v9
	s_waitcnt lgkmcnt(0)
	v_cmp_eq_u64_e32 vcc, v[5:6], v[9:10]
	s_and_saveexec_b64 s[2:3], vcc
	s_cbranch_execz .LBB61_18
; %bb.17:
	v_subrev_u32_e32 v9, 64, v8
	ds_read_b64 v[9:10], v9
	s_waitcnt lgkmcnt(0)
	v_add_f32_e32 v3, v3, v9
	v_add_f32_e32 v4, v4, v10
.LBB61_18:
	s_or_b64 exec, exec, s[2:3]
.LBB61_19:
	s_or_b64 exec, exec, s[0:1]
	v_cmp_lt_u32_e32 vcc, 15, v0
	s_barrier
	ds_write_b64 v8, v[3:4]
	s_waitcnt lgkmcnt(0)
	s_barrier
	s_and_saveexec_b64 s[0:1], vcc
	s_cbranch_execz .LBB61_23
; %bb.20:
	v_add_u32_e32 v9, 0xffffff80, v7
	ds_read_b64 v[9:10], v9
	s_waitcnt lgkmcnt(0)
	v_cmp_eq_u64_e32 vcc, v[5:6], v[9:10]
	s_and_saveexec_b64 s[2:3], vcc
	s_cbranch_execz .LBB61_22
; %bb.21:
	v_add_u32_e32 v9, 0xffffff80, v8
	ds_read_b64 v[9:10], v9
	s_waitcnt lgkmcnt(0)
	v_add_f32_e32 v3, v3, v9
	v_add_f32_e32 v4, v4, v10
.LBB61_22:
	s_or_b64 exec, exec, s[2:3]
.LBB61_23:
	s_or_b64 exec, exec, s[0:1]
	v_cmp_lt_u32_e32 vcc, 31, v0
	s_barrier
	ds_write_b64 v8, v[3:4]
	s_waitcnt lgkmcnt(0)
	s_barrier
	s_and_saveexec_b64 s[0:1], vcc
	s_cbranch_execz .LBB61_27
; %bb.24:
	v_add_u32_e32 v9, 0xffffff00, v7
	ds_read_b64 v[9:10], v9
	s_waitcnt lgkmcnt(0)
	v_cmp_eq_u64_e32 vcc, v[5:6], v[9:10]
	s_and_saveexec_b64 s[2:3], vcc
	s_cbranch_execz .LBB61_26
; %bb.25:
	v_add_u32_e32 v9, 0xffffff00, v8
	ds_read_b64 v[9:10], v9
	s_waitcnt lgkmcnt(0)
	v_add_f32_e32 v3, v3, v9
	v_add_f32_e32 v4, v4, v10
.LBB61_26:
	s_or_b64 exec, exec, s[2:3]
.LBB61_27:
	;; [unrolled: 24-line block ×3, first 2 shown]
	s_or_b64 exec, exec, s[0:1]
	s_load_dwordx2 s[2:3], s[4:5], 0x28
	s_movk_i32 s0, 0x7f
	v_cmp_lt_u32_e32 vcc, s0, v0
	s_waitcnt lgkmcnt(0)
	s_barrier
	ds_write_b64 v8, v[3:4]
	s_waitcnt lgkmcnt(0)
	s_barrier
	s_and_saveexec_b64 s[0:1], vcc
	s_cbranch_execz .LBB61_35
; %bb.32:
	v_add_u32_e32 v9, 0xfffffc00, v7
	ds_read_b64 v[9:10], v9
	s_waitcnt lgkmcnt(0)
	v_cmp_eq_u64_e32 vcc, v[5:6], v[9:10]
	s_and_saveexec_b64 s[4:5], vcc
	s_cbranch_execz .LBB61_34
; %bb.33:
	v_add_u32_e32 v9, 0xfffffc00, v8
	ds_read_b64 v[9:10], v9
	s_waitcnt lgkmcnt(0)
	v_add_f32_e32 v3, v3, v9
	v_add_f32_e32 v4, v4, v10
.LBB61_34:
	s_or_b64 exec, exec, s[4:5]
.LBB61_35:
	s_or_b64 exec, exec, s[0:1]
	s_movk_i32 s6, 0xff
	v_cmp_gt_u32_e32 vcc, s6, v0
	s_barrier
	ds_write_b64 v8, v[3:4]
	s_waitcnt lgkmcnt(0)
	s_barrier
	s_and_saveexec_b64 s[4:5], vcc
	s_cbranch_execz .LBB61_41
; %bb.36:
	ds_read_b64 v[7:8], v7 offset:8
	v_cmp_lt_i64_e64 s[0:1], -1, v[5:6]
	s_waitcnt lgkmcnt(0)
	v_cmp_ne_u64_e32 vcc, v[5:6], v[7:8]
	s_and_b64 s[0:1], s[0:1], vcc
	s_and_b64 exec, exec, s[0:1]
	s_cbranch_execz .LBB61_41
; %bb.37:
	v_lshlrev_b64 v[7:8], 3, v[5:6]
	v_mov_b32_e32 v9, s3
	v_add_co_u32_e32 v7, vcc, s2, v7
	v_addc_co_u32_e32 v8, vcc, v9, v8, vcc
	global_load_dword v10, v[7:8], off
	v_mul_f32_e64 v11, v4, -v2
	v_fmac_f32_e32 v11, v1, v3
	s_mov_b64 s[0:1], 0
.LBB61_38:                              ; =>This Inner Loop Header: Depth=1
	s_waitcnt vmcnt(0)
	v_add_f32_e32 v9, v10, v11
	global_atomic_cmpswap v9, v[7:8], v[9:10], off glc
	s_waitcnt vmcnt(0)
	v_cmp_eq_u32_e32 vcc, v9, v10
	s_or_b64 s[0:1], vcc, s[0:1]
	v_mov_b32_e32 v10, v9
	s_andn2_b64 exec, exec, s[0:1]
	s_cbranch_execnz .LBB61_38
; %bb.39:
	s_or_b64 exec, exec, s[0:1]
	global_load_dword v10, v[7:8], off offset:4
	v_mul_f32_e32 v11, v1, v4
	v_fmac_f32_e32 v11, v2, v3
	s_mov_b64 s[0:1], 0
.LBB61_40:                              ; =>This Inner Loop Header: Depth=1
	s_waitcnt vmcnt(0)
	v_add_f32_e32 v9, v10, v11
	global_atomic_cmpswap v9, v[7:8], v[9:10], off offset:4 glc
	s_waitcnt vmcnt(0)
	v_cmp_eq_u32_e32 vcc, v9, v10
	s_or_b64 s[0:1], vcc, s[0:1]
	v_mov_b32_e32 v10, v9
	s_andn2_b64 exec, exec, s[0:1]
	s_cbranch_execnz .LBB61_40
.LBB61_41:
	s_or_b64 exec, exec, s[4:5]
	v_cmp_lt_i64_e32 vcc, -1, v[5:6]
	v_cmp_eq_u32_e64 s[0:1], s6, v0
	s_and_b64 s[0:1], s[0:1], vcc
	s_and_b64 exec, exec, s[0:1]
	s_cbranch_execz .LBB61_46
; %bb.42:
	v_lshlrev_b64 v[5:6], 3, v[5:6]
	v_mov_b32_e32 v0, s3
	v_add_co_u32_e32 v5, vcc, s2, v5
	v_addc_co_u32_e32 v6, vcc, v0, v6, vcc
	global_load_dword v8, v[5:6], off
	v_mul_f32_e64 v0, v4, -v2
	v_fmac_f32_e32 v0, v1, v3
	s_mov_b64 s[0:1], 0
.LBB61_43:                              ; =>This Inner Loop Header: Depth=1
	s_waitcnt vmcnt(0)
	v_add_f32_e32 v7, v8, v0
	global_atomic_cmpswap v7, v[5:6], v[7:8], off glc
	s_waitcnt vmcnt(0)
	v_cmp_eq_u32_e32 vcc, v7, v8
	s_or_b64 s[0:1], vcc, s[0:1]
	v_mov_b32_e32 v8, v7
	s_andn2_b64 exec, exec, s[0:1]
	s_cbranch_execnz .LBB61_43
; %bb.44:
	s_or_b64 exec, exec, s[0:1]
	global_load_dword v8, v[5:6], off offset:4
	v_mul_f32_e32 v0, v1, v4
	v_fmac_f32_e32 v0, v2, v3
	s_mov_b64 s[0:1], 0
.LBB61_45:                              ; =>This Inner Loop Header: Depth=1
	s_waitcnt vmcnt(0)
	v_add_f32_e32 v7, v8, v0
	global_atomic_cmpswap v1, v[5:6], v[7:8], off offset:4 glc
	s_waitcnt vmcnt(0)
	v_cmp_eq_u32_e32 vcc, v1, v8
	s_or_b64 s[0:1], vcc, s[0:1]
	v_mov_b32_e32 v8, v1
	s_andn2_b64 exec, exec, s[0:1]
	s_cbranch_execnz .LBB61_45
.LBB61_46:
	s_endpgm
	.section	.rodata,"a",@progbits
	.p2align	6, 0x0
	.amdhsa_kernel _ZN9rocsparseL23coomvn_aos_atomic_loopsILj256ELj1Elf21rocsparse_complex_numIfES2_S2_EEvlNS_24const_host_device_scalarIT5_EEPKT1_PKT2_PKT3_PT4_21rocsparse_index_base_b
		.amdhsa_group_segment_fixed_size 4096
		.amdhsa_private_segment_fixed_size 0
		.amdhsa_kernarg_size 56
		.amdhsa_user_sgpr_count 6
		.amdhsa_user_sgpr_private_segment_buffer 1
		.amdhsa_user_sgpr_dispatch_ptr 0
		.amdhsa_user_sgpr_queue_ptr 0
		.amdhsa_user_sgpr_kernarg_segment_ptr 1
		.amdhsa_user_sgpr_dispatch_id 0
		.amdhsa_user_sgpr_flat_scratch_init 0
		.amdhsa_user_sgpr_private_segment_size 0
		.amdhsa_uses_dynamic_stack 0
		.amdhsa_system_sgpr_private_segment_wavefront_offset 0
		.amdhsa_system_sgpr_workgroup_id_x 1
		.amdhsa_system_sgpr_workgroup_id_y 0
		.amdhsa_system_sgpr_workgroup_id_z 0
		.amdhsa_system_sgpr_workgroup_info 0
		.amdhsa_system_vgpr_workitem_id 0
		.amdhsa_next_free_vgpr 12
		.amdhsa_next_free_sgpr 12
		.amdhsa_reserve_vcc 1
		.amdhsa_reserve_flat_scratch 0
		.amdhsa_float_round_mode_32 0
		.amdhsa_float_round_mode_16_64 0
		.amdhsa_float_denorm_mode_32 3
		.amdhsa_float_denorm_mode_16_64 3
		.amdhsa_dx10_clamp 1
		.amdhsa_ieee_mode 1
		.amdhsa_fp16_overflow 0
		.amdhsa_exception_fp_ieee_invalid_op 0
		.amdhsa_exception_fp_denorm_src 0
		.amdhsa_exception_fp_ieee_div_zero 0
		.amdhsa_exception_fp_ieee_overflow 0
		.amdhsa_exception_fp_ieee_underflow 0
		.amdhsa_exception_fp_ieee_inexact 0
		.amdhsa_exception_int_div_zero 0
	.end_amdhsa_kernel
	.section	.text._ZN9rocsparseL23coomvn_aos_atomic_loopsILj256ELj1Elf21rocsparse_complex_numIfES2_S2_EEvlNS_24const_host_device_scalarIT5_EEPKT1_PKT2_PKT3_PT4_21rocsparse_index_base_b,"axG",@progbits,_ZN9rocsparseL23coomvn_aos_atomic_loopsILj256ELj1Elf21rocsparse_complex_numIfES2_S2_EEvlNS_24const_host_device_scalarIT5_EEPKT1_PKT2_PKT3_PT4_21rocsparse_index_base_b,comdat
.Lfunc_end61:
	.size	_ZN9rocsparseL23coomvn_aos_atomic_loopsILj256ELj1Elf21rocsparse_complex_numIfES2_S2_EEvlNS_24const_host_device_scalarIT5_EEPKT1_PKT2_PKT3_PT4_21rocsparse_index_base_b, .Lfunc_end61-_ZN9rocsparseL23coomvn_aos_atomic_loopsILj256ELj1Elf21rocsparse_complex_numIfES2_S2_EEvlNS_24const_host_device_scalarIT5_EEPKT1_PKT2_PKT3_PT4_21rocsparse_index_base_b
                                        ; -- End function
	.set _ZN9rocsparseL23coomvn_aos_atomic_loopsILj256ELj1Elf21rocsparse_complex_numIfES2_S2_EEvlNS_24const_host_device_scalarIT5_EEPKT1_PKT2_PKT3_PT4_21rocsparse_index_base_b.num_vgpr, 12
	.set _ZN9rocsparseL23coomvn_aos_atomic_loopsILj256ELj1Elf21rocsparse_complex_numIfES2_S2_EEvlNS_24const_host_device_scalarIT5_EEPKT1_PKT2_PKT3_PT4_21rocsparse_index_base_b.num_agpr, 0
	.set _ZN9rocsparseL23coomvn_aos_atomic_loopsILj256ELj1Elf21rocsparse_complex_numIfES2_S2_EEvlNS_24const_host_device_scalarIT5_EEPKT1_PKT2_PKT3_PT4_21rocsparse_index_base_b.numbered_sgpr, 12
	.set _ZN9rocsparseL23coomvn_aos_atomic_loopsILj256ELj1Elf21rocsparse_complex_numIfES2_S2_EEvlNS_24const_host_device_scalarIT5_EEPKT1_PKT2_PKT3_PT4_21rocsparse_index_base_b.num_named_barrier, 0
	.set _ZN9rocsparseL23coomvn_aos_atomic_loopsILj256ELj1Elf21rocsparse_complex_numIfES2_S2_EEvlNS_24const_host_device_scalarIT5_EEPKT1_PKT2_PKT3_PT4_21rocsparse_index_base_b.private_seg_size, 0
	.set _ZN9rocsparseL23coomvn_aos_atomic_loopsILj256ELj1Elf21rocsparse_complex_numIfES2_S2_EEvlNS_24const_host_device_scalarIT5_EEPKT1_PKT2_PKT3_PT4_21rocsparse_index_base_b.uses_vcc, 1
	.set _ZN9rocsparseL23coomvn_aos_atomic_loopsILj256ELj1Elf21rocsparse_complex_numIfES2_S2_EEvlNS_24const_host_device_scalarIT5_EEPKT1_PKT2_PKT3_PT4_21rocsparse_index_base_b.uses_flat_scratch, 0
	.set _ZN9rocsparseL23coomvn_aos_atomic_loopsILj256ELj1Elf21rocsparse_complex_numIfES2_S2_EEvlNS_24const_host_device_scalarIT5_EEPKT1_PKT2_PKT3_PT4_21rocsparse_index_base_b.has_dyn_sized_stack, 0
	.set _ZN9rocsparseL23coomvn_aos_atomic_loopsILj256ELj1Elf21rocsparse_complex_numIfES2_S2_EEvlNS_24const_host_device_scalarIT5_EEPKT1_PKT2_PKT3_PT4_21rocsparse_index_base_b.has_recursion, 0
	.set _ZN9rocsparseL23coomvn_aos_atomic_loopsILj256ELj1Elf21rocsparse_complex_numIfES2_S2_EEvlNS_24const_host_device_scalarIT5_EEPKT1_PKT2_PKT3_PT4_21rocsparse_index_base_b.has_indirect_call, 0
	.section	.AMDGPU.csdata,"",@progbits
; Kernel info:
; codeLenInByte = 1468
; TotalNumSgprs: 16
; NumVgprs: 12
; ScratchSize: 0
; MemoryBound: 0
; FloatMode: 240
; IeeeMode: 1
; LDSByteSize: 4096 bytes/workgroup (compile time only)
; SGPRBlocks: 1
; VGPRBlocks: 2
; NumSGPRsForWavesPerEU: 16
; NumVGPRsForWavesPerEU: 12
; Occupancy: 10
; WaveLimiterHint : 1
; COMPUTE_PGM_RSRC2:SCRATCH_EN: 0
; COMPUTE_PGM_RSRC2:USER_SGPR: 6
; COMPUTE_PGM_RSRC2:TRAP_HANDLER: 0
; COMPUTE_PGM_RSRC2:TGID_X_EN: 1
; COMPUTE_PGM_RSRC2:TGID_Y_EN: 0
; COMPUTE_PGM_RSRC2:TGID_Z_EN: 0
; COMPUTE_PGM_RSRC2:TIDIG_COMP_CNT: 0
	.section	.text._ZN9rocsparseL17coomvt_aos_kernelILj1024Elf21rocsparse_complex_numIfES2_S2_EEv20rocsparse_operation_lNS_24const_host_device_scalarIT4_EEPKT0_PKT1_PKT2_PT3_21rocsparse_index_base_b,"axG",@progbits,_ZN9rocsparseL17coomvt_aos_kernelILj1024Elf21rocsparse_complex_numIfES2_S2_EEv20rocsparse_operation_lNS_24const_host_device_scalarIT4_EEPKT0_PKT1_PKT2_PT3_21rocsparse_index_base_b,comdat
	.globl	_ZN9rocsparseL17coomvt_aos_kernelILj1024Elf21rocsparse_complex_numIfES2_S2_EEv20rocsparse_operation_lNS_24const_host_device_scalarIT4_EEPKT0_PKT1_PKT2_PT3_21rocsparse_index_base_b ; -- Begin function _ZN9rocsparseL17coomvt_aos_kernelILj1024Elf21rocsparse_complex_numIfES2_S2_EEv20rocsparse_operation_lNS_24const_host_device_scalarIT4_EEPKT0_PKT1_PKT2_PT3_21rocsparse_index_base_b
	.p2align	8
	.type	_ZN9rocsparseL17coomvt_aos_kernelILj1024Elf21rocsparse_complex_numIfES2_S2_EEv20rocsparse_operation_lNS_24const_host_device_scalarIT4_EEPKT0_PKT1_PKT2_PT3_21rocsparse_index_base_b,@function
_ZN9rocsparseL17coomvt_aos_kernelILj1024Elf21rocsparse_complex_numIfES2_S2_EEv20rocsparse_operation_lNS_24const_host_device_scalarIT4_EEPKT0_PKT1_PKT2_PT3_21rocsparse_index_base_b: ; @_ZN9rocsparseL17coomvt_aos_kernelILj1024Elf21rocsparse_complex_numIfES2_S2_EEv20rocsparse_operation_lNS_24const_host_device_scalarIT4_EEPKT0_PKT1_PKT2_PT3_21rocsparse_index_base_b
; %bb.0:
	s_load_dwordx2 s[2:3], s[4:5], 0x38
	s_load_dwordx4 s[8:11], s[4:5], 0x8
	s_add_u32 s0, s4, 16
	s_addc_u32 s1, s5, 0
	s_waitcnt lgkmcnt(0)
	s_bitcmp1_b32 s3, 0
	s_cselect_b32 s1, s1, s11
	s_cselect_b32 s0, s0, s10
	v_mov_b32_e32 v1, s0
	v_mov_b32_e32 v2, s1
	flat_load_dwordx2 v[1:2], v[1:2]
	s_waitcnt vmcnt(0) lgkmcnt(0)
	v_cmp_neq_f32_e32 vcc, 0, v1
	v_cmp_neq_f32_e64 s[0:1], 0, v2
	s_or_b64 s[0:1], vcc, s[0:1]
	s_and_saveexec_b64 s[10:11], s[0:1]
	s_cbranch_execz .LBB62_6
; %bb.1:
	s_load_dword s0, s[4:5], 0x4c
	v_mov_b32_e32 v4, 0
	s_waitcnt lgkmcnt(0)
	s_and_b32 s0, s0, 0xffff
	s_mul_i32 s6, s6, s0
	v_add_u32_e32 v3, s6, v0
	v_cmp_gt_i64_e32 vcc, s[8:9], v[3:4]
	s_and_b64 exec, exec, vcc
	s_cbranch_execz .LBB62_6
; %bb.2:
	s_load_dwordx8 s[8:15], s[4:5], 0x18
	v_lshlrev_b64 v[5:6], 4, v[3:4]
	v_lshlrev_b64 v[3:4], 2, v[3:4]
	s_mov_b64 s[0:1], 0
	s_waitcnt lgkmcnt(0)
	v_mov_b32_e32 v0, s9
	v_add_co_u32_e32 v5, vcc, s8, v5
	v_addc_co_u32_e32 v6, vcc, v0, v6, vcc
	global_load_dwordx4 v[5:8], v[5:6], off
	v_mov_b32_e32 v0, s11
	v_add_co_u32_e32 v3, vcc, s10, v3
	v_addc_co_u32_e32 v4, vcc, v0, v4, vcc
	global_load_dword v11, v[3:4], off
	v_mov_b32_e32 v10, s13
	v_mov_b32_e32 v9, s15
	v_mul_f32_e32 v0, 0x80000000, v2
	s_waitcnt vmcnt(1)
	v_subrev_co_u32_e32 v3, vcc, s2, v5
	v_subbrev_co_u32_e32 v4, vcc, 0, v6, vcc
	v_subrev_co_u32_e32 v5, vcc, s2, v7
	v_lshlrev_b64 v[3:4], 3, v[3:4]
	v_subbrev_co_u32_e32 v6, vcc, 0, v8, vcc
	v_lshlrev_b64 v[7:8], 3, v[5:6]
	v_add_co_u32_e32 v3, vcc, s12, v3
	v_addc_co_u32_e32 v4, vcc, v10, v4, vcc
	global_load_dwordx2 v[5:6], v[3:4], off
	v_add_co_u32_e32 v3, vcc, s14, v7
	v_addc_co_u32_e32 v4, vcc, v9, v8, vcc
	global_load_dword v8, v[3:4], off
	v_mul_f32_e32 v9, 0, v1
	s_waitcnt vmcnt(2)
	v_fmac_f32_e32 v9, v2, v11
	v_fmac_f32_e32 v0, v1, v11
	s_waitcnt vmcnt(1)
	v_mul_f32_e64 v1, v6, -v9
	v_fmac_f32_e32 v1, v0, v5
.LBB62_3:                               ; =>This Inner Loop Header: Depth=1
	s_waitcnt vmcnt(0)
	v_add_f32_e32 v7, v8, v1
	global_atomic_cmpswap v2, v[3:4], v[7:8], off glc
	s_waitcnt vmcnt(0)
	v_cmp_eq_u32_e32 vcc, v2, v8
	s_or_b64 s[0:1], vcc, s[0:1]
	v_mov_b32_e32 v8, v2
	s_andn2_b64 exec, exec, s[0:1]
	s_cbranch_execnz .LBB62_3
; %bb.4:
	s_or_b64 exec, exec, s[0:1]
	global_load_dword v1, v[3:4], off offset:4
	v_mul_f32_e32 v2, v0, v6
	v_fmac_f32_e32 v2, v9, v5
	s_mov_b64 s[0:1], 0
.LBB62_5:                               ; =>This Inner Loop Header: Depth=1
	s_waitcnt vmcnt(0)
	v_add_f32_e32 v0, v1, v2
	global_atomic_cmpswap v0, v[3:4], v[0:1], off offset:4 glc
	s_waitcnt vmcnt(0)
	v_cmp_eq_u32_e32 vcc, v0, v1
	s_or_b64 s[0:1], vcc, s[0:1]
	v_mov_b32_e32 v1, v0
	s_andn2_b64 exec, exec, s[0:1]
	s_cbranch_execnz .LBB62_5
.LBB62_6:
	s_endpgm
	.section	.rodata,"a",@progbits
	.p2align	6, 0x0
	.amdhsa_kernel _ZN9rocsparseL17coomvt_aos_kernelILj1024Elf21rocsparse_complex_numIfES2_S2_EEv20rocsparse_operation_lNS_24const_host_device_scalarIT4_EEPKT0_PKT1_PKT2_PT3_21rocsparse_index_base_b
		.amdhsa_group_segment_fixed_size 0
		.amdhsa_private_segment_fixed_size 0
		.amdhsa_kernarg_size 320
		.amdhsa_user_sgpr_count 6
		.amdhsa_user_sgpr_private_segment_buffer 1
		.amdhsa_user_sgpr_dispatch_ptr 0
		.amdhsa_user_sgpr_queue_ptr 0
		.amdhsa_user_sgpr_kernarg_segment_ptr 1
		.amdhsa_user_sgpr_dispatch_id 0
		.amdhsa_user_sgpr_flat_scratch_init 0
		.amdhsa_user_sgpr_private_segment_size 0
		.amdhsa_uses_dynamic_stack 0
		.amdhsa_system_sgpr_private_segment_wavefront_offset 0
		.amdhsa_system_sgpr_workgroup_id_x 1
		.amdhsa_system_sgpr_workgroup_id_y 0
		.amdhsa_system_sgpr_workgroup_id_z 0
		.amdhsa_system_sgpr_workgroup_info 0
		.amdhsa_system_vgpr_workitem_id 0
		.amdhsa_next_free_vgpr 12
		.amdhsa_next_free_sgpr 16
		.amdhsa_reserve_vcc 1
		.amdhsa_reserve_flat_scratch 0
		.amdhsa_float_round_mode_32 0
		.amdhsa_float_round_mode_16_64 0
		.amdhsa_float_denorm_mode_32 3
		.amdhsa_float_denorm_mode_16_64 3
		.amdhsa_dx10_clamp 1
		.amdhsa_ieee_mode 1
		.amdhsa_fp16_overflow 0
		.amdhsa_exception_fp_ieee_invalid_op 0
		.amdhsa_exception_fp_denorm_src 0
		.amdhsa_exception_fp_ieee_div_zero 0
		.amdhsa_exception_fp_ieee_overflow 0
		.amdhsa_exception_fp_ieee_underflow 0
		.amdhsa_exception_fp_ieee_inexact 0
		.amdhsa_exception_int_div_zero 0
	.end_amdhsa_kernel
	.section	.text._ZN9rocsparseL17coomvt_aos_kernelILj1024Elf21rocsparse_complex_numIfES2_S2_EEv20rocsparse_operation_lNS_24const_host_device_scalarIT4_EEPKT0_PKT1_PKT2_PT3_21rocsparse_index_base_b,"axG",@progbits,_ZN9rocsparseL17coomvt_aos_kernelILj1024Elf21rocsparse_complex_numIfES2_S2_EEv20rocsparse_operation_lNS_24const_host_device_scalarIT4_EEPKT0_PKT1_PKT2_PT3_21rocsparse_index_base_b,comdat
.Lfunc_end62:
	.size	_ZN9rocsparseL17coomvt_aos_kernelILj1024Elf21rocsparse_complex_numIfES2_S2_EEv20rocsparse_operation_lNS_24const_host_device_scalarIT4_EEPKT0_PKT1_PKT2_PT3_21rocsparse_index_base_b, .Lfunc_end62-_ZN9rocsparseL17coomvt_aos_kernelILj1024Elf21rocsparse_complex_numIfES2_S2_EEv20rocsparse_operation_lNS_24const_host_device_scalarIT4_EEPKT0_PKT1_PKT2_PT3_21rocsparse_index_base_b
                                        ; -- End function
	.set _ZN9rocsparseL17coomvt_aos_kernelILj1024Elf21rocsparse_complex_numIfES2_S2_EEv20rocsparse_operation_lNS_24const_host_device_scalarIT4_EEPKT0_PKT1_PKT2_PT3_21rocsparse_index_base_b.num_vgpr, 12
	.set _ZN9rocsparseL17coomvt_aos_kernelILj1024Elf21rocsparse_complex_numIfES2_S2_EEv20rocsparse_operation_lNS_24const_host_device_scalarIT4_EEPKT0_PKT1_PKT2_PT3_21rocsparse_index_base_b.num_agpr, 0
	.set _ZN9rocsparseL17coomvt_aos_kernelILj1024Elf21rocsparse_complex_numIfES2_S2_EEv20rocsparse_operation_lNS_24const_host_device_scalarIT4_EEPKT0_PKT1_PKT2_PT3_21rocsparse_index_base_b.numbered_sgpr, 16
	.set _ZN9rocsparseL17coomvt_aos_kernelILj1024Elf21rocsparse_complex_numIfES2_S2_EEv20rocsparse_operation_lNS_24const_host_device_scalarIT4_EEPKT0_PKT1_PKT2_PT3_21rocsparse_index_base_b.num_named_barrier, 0
	.set _ZN9rocsparseL17coomvt_aos_kernelILj1024Elf21rocsparse_complex_numIfES2_S2_EEv20rocsparse_operation_lNS_24const_host_device_scalarIT4_EEPKT0_PKT1_PKT2_PT3_21rocsparse_index_base_b.private_seg_size, 0
	.set _ZN9rocsparseL17coomvt_aos_kernelILj1024Elf21rocsparse_complex_numIfES2_S2_EEv20rocsparse_operation_lNS_24const_host_device_scalarIT4_EEPKT0_PKT1_PKT2_PT3_21rocsparse_index_base_b.uses_vcc, 1
	.set _ZN9rocsparseL17coomvt_aos_kernelILj1024Elf21rocsparse_complex_numIfES2_S2_EEv20rocsparse_operation_lNS_24const_host_device_scalarIT4_EEPKT0_PKT1_PKT2_PT3_21rocsparse_index_base_b.uses_flat_scratch, 0
	.set _ZN9rocsparseL17coomvt_aos_kernelILj1024Elf21rocsparse_complex_numIfES2_S2_EEv20rocsparse_operation_lNS_24const_host_device_scalarIT4_EEPKT0_PKT1_PKT2_PT3_21rocsparse_index_base_b.has_dyn_sized_stack, 0
	.set _ZN9rocsparseL17coomvt_aos_kernelILj1024Elf21rocsparse_complex_numIfES2_S2_EEv20rocsparse_operation_lNS_24const_host_device_scalarIT4_EEPKT0_PKT1_PKT2_PT3_21rocsparse_index_base_b.has_recursion, 0
	.set _ZN9rocsparseL17coomvt_aos_kernelILj1024Elf21rocsparse_complex_numIfES2_S2_EEv20rocsparse_operation_lNS_24const_host_device_scalarIT4_EEPKT0_PKT1_PKT2_PT3_21rocsparse_index_base_b.has_indirect_call, 0
	.section	.AMDGPU.csdata,"",@progbits
; Kernel info:
; codeLenInByte = 424
; TotalNumSgprs: 20
; NumVgprs: 12
; ScratchSize: 0
; MemoryBound: 0
; FloatMode: 240
; IeeeMode: 1
; LDSByteSize: 0 bytes/workgroup (compile time only)
; SGPRBlocks: 2
; VGPRBlocks: 2
; NumSGPRsForWavesPerEU: 20
; NumVGPRsForWavesPerEU: 12
; Occupancy: 10
; WaveLimiterHint : 1
; COMPUTE_PGM_RSRC2:SCRATCH_EN: 0
; COMPUTE_PGM_RSRC2:USER_SGPR: 6
; COMPUTE_PGM_RSRC2:TRAP_HANDLER: 0
; COMPUTE_PGM_RSRC2:TGID_X_EN: 1
; COMPUTE_PGM_RSRC2:TGID_Y_EN: 0
; COMPUTE_PGM_RSRC2:TGID_Z_EN: 0
; COMPUTE_PGM_RSRC2:TIDIG_COMP_CNT: 0
	.section	.text._ZN9rocsparseL26coomvn_aos_segmented_loopsILj256Elf21rocsparse_complex_numIfES2_S2_EEvlT0_NS_24const_host_device_scalarIT4_EEPKS3_PKT1_PKT2_PT3_PS3_PS5_21rocsparse_index_base_b,"axG",@progbits,_ZN9rocsparseL26coomvn_aos_segmented_loopsILj256Elf21rocsparse_complex_numIfES2_S2_EEvlT0_NS_24const_host_device_scalarIT4_EEPKS3_PKT1_PKT2_PT3_PS3_PS5_21rocsparse_index_base_b,comdat
	.globl	_ZN9rocsparseL26coomvn_aos_segmented_loopsILj256Elf21rocsparse_complex_numIfES2_S2_EEvlT0_NS_24const_host_device_scalarIT4_EEPKS3_PKT1_PKT2_PT3_PS3_PS5_21rocsparse_index_base_b ; -- Begin function _ZN9rocsparseL26coomvn_aos_segmented_loopsILj256Elf21rocsparse_complex_numIfES2_S2_EEvlT0_NS_24const_host_device_scalarIT4_EEPKS3_PKT1_PKT2_PT3_PS3_PS5_21rocsparse_index_base_b
	.p2align	8
	.type	_ZN9rocsparseL26coomvn_aos_segmented_loopsILj256Elf21rocsparse_complex_numIfES2_S2_EEvlT0_NS_24const_host_device_scalarIT4_EEPKS3_PKT1_PKT2_PT3_PS3_PS5_21rocsparse_index_base_b,@function
_ZN9rocsparseL26coomvn_aos_segmented_loopsILj256Elf21rocsparse_complex_numIfES2_S2_EEvlT0_NS_24const_host_device_scalarIT4_EEPKS3_PKT1_PKT2_PT3_PS3_PS5_21rocsparse_index_base_b: ; @_ZN9rocsparseL26coomvn_aos_segmented_loopsILj256Elf21rocsparse_complex_numIfES2_S2_EEvlT0_NS_24const_host_device_scalarIT4_EEPKS3_PKT1_PKT2_PT3_PS3_PS5_21rocsparse_index_base_b
; %bb.0:
	s_load_dwordx2 s[34:35], s[4:5], 0x48
	s_load_dwordx2 s[0:1], s[4:5], 0x10
	s_add_u32 s2, s4, 16
	s_addc_u32 s3, s5, 0
	s_mov_b32 s7, 0
	s_waitcnt lgkmcnt(0)
	s_bitcmp1_b32 s35, 0
	s_cselect_b32 s1, s3, s1
	s_cselect_b32 s0, s2, s0
	v_mov_b32_e32 v1, s0
	v_mov_b32_e32 v2, s1
	flat_load_dwordx2 v[1:2], v[1:2]
	s_waitcnt vmcnt(0) lgkmcnt(0)
	v_cmp_neq_f32_e32 vcc, 0, v1
	v_cmp_neq_f32_e64 s[0:1], 0, v2
	s_or_b64 s[0:1], vcc, s[0:1]
	s_and_saveexec_b64 s[2:3], s[0:1]
	s_cbranch_execz .LBB63_87
; %bb.1:
	s_load_dwordx4 s[28:31], s[4:5], 0x0
	s_load_dwordx4 s[36:39], s[4:5], 0x18
	s_load_dwordx2 s[44:45], s[4:5], 0x28
	v_mov_b32_e32 v5, 0
	v_mov_b32_e32 v3, -1
	s_waitcnt lgkmcnt(0)
	s_mul_i32 s1, s6, s31
	s_mul_hi_u32 s2, s6, s30
	s_mul_i32 s0, s6, s30
	s_add_i32 s1, s2, s1
	s_lshl_b64 s[0:1], s[0:1], 8
	v_or_b32_e32 v8, s0, v0
	v_mov_b32_e32 v9, s1
	v_cmp_gt_i64_e32 vcc, s[28:29], v[8:9]
	v_mov_b32_e32 v4, -1
	v_mov_b32_e32 v6, v5
	s_and_saveexec_b64 s[0:1], vcc
	s_cbranch_execz .LBB63_3
; %bb.2:
	v_lshlrev_b64 v[3:4], 4, v[8:9]
	v_mov_b32_e32 v5, s37
	v_add_co_u32_e32 v3, vcc, s36, v3
	v_addc_co_u32_e32 v4, vcc, v5, v4, vcc
	global_load_dwordx4 v[3:6], v[3:4], off glc slc
	v_lshlrev_b64 v[10:11], 2, v[8:9]
	v_mov_b32_e32 v7, s39
	v_add_co_u32_e32 v10, vcc, s38, v10
	v_addc_co_u32_e32 v11, vcc, v7, v11, vcc
	v_mov_b32_e32 v12, s45
	s_ashr_i32 s35, s34, 31
	s_lshl_b64 s[2:3], s[34:35], 3
	v_mov_b32_e32 v7, s3
	s_waitcnt vmcnt(0)
	v_lshlrev_b64 v[5:6], 3, v[5:6]
	v_add_co_u32_e32 v5, vcc, s44, v5
	v_addc_co_u32_e32 v6, vcc, v12, v6, vcc
	v_subrev_co_u32_e32 v5, vcc, s2, v5
	v_subb_co_u32_e32 v6, vcc, v6, v7, vcc
	global_load_dwordx2 v[12:13], v[5:6], off
	global_load_dword v7, v[10:11], off glc slc
	v_subrev_co_u32_e32 v3, vcc, s34, v3
	v_subbrev_co_u32_e32 v4, vcc, 0, v4, vcc
	s_waitcnt vmcnt(1)
	v_mul_f32_e32 v5, 0x80000000, v13
	s_waitcnt vmcnt(0)
	v_mul_f32_e32 v6, v7, v13
	v_fmac_f32_e32 v5, v7, v12
	v_fmac_f32_e32 v6, 0, v12
.LBB63_3:
	s_or_b64 exec, exec, s[0:1]
	v_lshlrev_b32_e32 v16, 3, v0
	v_or_b32_e32 v17, 0x800, v16
	v_cmp_eq_u32_e64 s[0:1], 0, v0
	v_cmp_ne_u32_e64 s[2:3], 0, v0
	v_add_u32_e32 v18, -8, v16
	ds_write2st64_b64 v16, v[3:4], v[5:6] offset1:4
	s_waitcnt lgkmcnt(0)
	s_barrier
	s_and_saveexec_b64 s[8:9], s[2:3]
	s_cbranch_execz .LBB63_7
; %bb.4:
	ds_read_b64 v[10:11], v18
	s_waitcnt lgkmcnt(0)
	v_cmp_eq_u64_e32 vcc, v[3:4], v[10:11]
	s_and_saveexec_b64 s[10:11], vcc
	s_cbranch_execz .LBB63_6
; %bb.5:
	v_add_u32_e32 v7, -8, v17
	ds_read_b64 v[10:11], v7
	s_waitcnt lgkmcnt(0)
	v_add_f32_e32 v5, v5, v10
	v_add_f32_e32 v6, v6, v11
.LBB63_6:
	s_or_b64 exec, exec, s[10:11]
.LBB63_7:
	s_or_b64 exec, exec, s[8:9]
	v_cmp_lt_u32_e64 s[22:23], 1, v0
	v_add_u32_e32 v19, -16, v16
	s_barrier
	ds_write_b64 v17, v[5:6]
	s_waitcnt lgkmcnt(0)
	s_barrier
	s_and_saveexec_b64 s[8:9], s[22:23]
	s_cbranch_execz .LBB63_11
; %bb.8:
	ds_read_b64 v[10:11], v19
	s_waitcnt lgkmcnt(0)
	v_cmp_eq_u64_e32 vcc, v[3:4], v[10:11]
	s_and_saveexec_b64 s[10:11], vcc
	s_cbranch_execz .LBB63_10
; %bb.9:
	v_add_u32_e32 v7, -16, v17
	ds_read_b64 v[10:11], v7
	s_waitcnt lgkmcnt(0)
	v_add_f32_e32 v5, v5, v10
	v_add_f32_e32 v6, v6, v11
.LBB63_10:
	s_or_b64 exec, exec, s[10:11]
.LBB63_11:
	s_or_b64 exec, exec, s[8:9]
	v_cmp_lt_u32_e64 s[8:9], 3, v0
	v_subrev_u32_e32 v20, 32, v16
	s_barrier
	ds_write_b64 v17, v[5:6]
	s_waitcnt lgkmcnt(0)
	s_barrier
	s_and_saveexec_b64 s[10:11], s[8:9]
	s_cbranch_execz .LBB63_15
; %bb.12:
	ds_read_b64 v[10:11], v20
	s_waitcnt lgkmcnt(0)
	v_cmp_eq_u64_e32 vcc, v[3:4], v[10:11]
	s_and_saveexec_b64 s[12:13], vcc
	s_cbranch_execz .LBB63_14
; %bb.13:
	v_subrev_u32_e32 v7, 32, v17
	ds_read_b64 v[10:11], v7
	s_waitcnt lgkmcnt(0)
	v_add_f32_e32 v5, v5, v10
	v_add_f32_e32 v6, v6, v11
.LBB63_14:
	s_or_b64 exec, exec, s[12:13]
.LBB63_15:
	s_or_b64 exec, exec, s[10:11]
	v_cmp_lt_u32_e64 s[10:11], 7, v0
	v_subrev_u32_e32 v21, 64, v16
	s_barrier
	ds_write_b64 v17, v[5:6]
	s_waitcnt lgkmcnt(0)
	s_barrier
	s_and_saveexec_b64 s[12:13], s[10:11]
	s_cbranch_execz .LBB63_19
; %bb.16:
	ds_read_b64 v[10:11], v21
	s_waitcnt lgkmcnt(0)
	v_cmp_eq_u64_e32 vcc, v[3:4], v[10:11]
	s_and_saveexec_b64 s[14:15], vcc
	s_cbranch_execz .LBB63_18
; %bb.17:
	v_subrev_u32_e32 v7, 64, v17
	ds_read_b64 v[10:11], v7
	s_waitcnt lgkmcnt(0)
	v_add_f32_e32 v5, v5, v10
	v_add_f32_e32 v6, v6, v11
.LBB63_18:
	s_or_b64 exec, exec, s[14:15]
.LBB63_19:
	s_or_b64 exec, exec, s[12:13]
	v_cmp_lt_u32_e64 s[12:13], 15, v0
	s_barrier
	ds_write_b64 v17, v[5:6]
	s_waitcnt lgkmcnt(0)
	s_barrier
	s_and_saveexec_b64 s[14:15], s[12:13]
	s_cbranch_execz .LBB63_23
; %bb.20:
	v_add_u32_e32 v7, 0xffffff80, v16
	ds_read_b64 v[10:11], v7
	s_waitcnt lgkmcnt(0)
	v_cmp_eq_u64_e32 vcc, v[3:4], v[10:11]
	s_and_saveexec_b64 s[16:17], vcc
	s_cbranch_execz .LBB63_22
; %bb.21:
	v_add_u32_e32 v7, 0xffffff80, v17
	ds_read_b64 v[10:11], v7
	s_waitcnt lgkmcnt(0)
	v_add_f32_e32 v5, v5, v10
	v_add_f32_e32 v6, v6, v11
.LBB63_22:
	s_or_b64 exec, exec, s[16:17]
.LBB63_23:
	s_or_b64 exec, exec, s[14:15]
	v_cmp_lt_u32_e64 s[14:15], 31, v0
	s_barrier
	ds_write_b64 v17, v[5:6]
	s_waitcnt lgkmcnt(0)
	s_barrier
	s_and_saveexec_b64 s[16:17], s[14:15]
	s_cbranch_execz .LBB63_27
; %bb.24:
	v_add_u32_e32 v7, 0xffffff00, v16
	ds_read_b64 v[10:11], v7
	s_waitcnt lgkmcnt(0)
	v_cmp_eq_u64_e32 vcc, v[3:4], v[10:11]
	s_and_saveexec_b64 s[18:19], vcc
	s_cbranch_execz .LBB63_26
; %bb.25:
	v_add_u32_e32 v7, 0xffffff00, v17
	ds_read_b64 v[10:11], v7
	s_waitcnt lgkmcnt(0)
	v_add_f32_e32 v5, v5, v10
	v_add_f32_e32 v6, v6, v11
.LBB63_26:
	s_or_b64 exec, exec, s[18:19]
.LBB63_27:
	;; [unrolled: 24-line block ×3, first 2 shown]
	s_or_b64 exec, exec, s[18:19]
	s_load_dwordx2 s[40:41], s[4:5], 0x30
	s_movk_i32 s18, 0x7f
	v_cmp_lt_u32_e64 s[18:19], s18, v0
	s_waitcnt lgkmcnt(0)
	s_barrier
	ds_write_b64 v17, v[5:6]
	s_waitcnt lgkmcnt(0)
	s_barrier
	s_and_saveexec_b64 s[20:21], s[18:19]
	s_cbranch_execz .LBB63_35
; %bb.32:
	v_add_u32_e32 v7, 0xfffffc00, v16
	ds_read_b64 v[10:11], v7
	s_waitcnt lgkmcnt(0)
	v_cmp_eq_u64_e32 vcc, v[3:4], v[10:11]
	s_and_saveexec_b64 s[24:25], vcc
	s_cbranch_execz .LBB63_34
; %bb.33:
	v_add_u32_e32 v7, 0xfffffc00, v17
	ds_read_b64 v[10:11], v7
	s_waitcnt lgkmcnt(0)
	v_add_f32_e32 v5, v5, v10
	v_add_f32_e32 v6, v6, v11
.LBB63_34:
	s_or_b64 exec, exec, s[24:25]
.LBB63_35:
	s_or_b64 exec, exec, s[20:21]
	s_movk_i32 s20, 0xff
	v_cmp_gt_u32_e64 s[20:21], s20, v0
	s_barrier
	ds_write_b64 v17, v[5:6]
	s_waitcnt lgkmcnt(0)
	s_barrier
	s_and_saveexec_b64 s[26:27], s[20:21]
	s_cbranch_execz .LBB63_38
; %bb.36:
	ds_read_b64 v[10:11], v16 offset:8
	v_cmp_lt_i64_e64 s[24:25], -1, v[3:4]
	s_waitcnt lgkmcnt(0)
	v_cmp_ne_u64_e32 vcc, v[3:4], v[10:11]
	s_and_b64 s[24:25], s[24:25], vcc
	s_and_b64 exec, exec, s[24:25]
	s_cbranch_execz .LBB63_38
; %bb.37:
	v_lshlrev_b64 v[10:11], 3, v[3:4]
	v_mov_b32_e32 v7, s41
	v_add_co_u32_e32 v10, vcc, s40, v10
	v_addc_co_u32_e32 v11, vcc, v7, v11, vcc
	global_load_dwordx2 v[12:13], v[10:11], off
	s_waitcnt vmcnt(0)
	v_fma_f32 v7, v1, v5, v12
	v_fmac_f32_e32 v13, v2, v5
	v_fma_f32 v12, -v2, v6, v7
	v_fmac_f32_e32 v13, v1, v6
	global_store_dwordx2 v[10:11], v[12:13], off
.LBB63_38:
	s_or_b64 exec, exec, s[26:27]
	s_load_dwordx4 s[24:27], s[4:5], 0x38
	v_cmp_lt_i64_e64 s[4:5], s[30:31], 2
	s_and_b64 vcc, exec, s[4:5]
	s_cbranch_vccnz .LBB63_85
; %bb.39:
	s_add_u32 s42, s30, -1
	s_addc_u32 s43, s31, -1
	s_ashr_i32 s35, s34, 31
	s_lshl_b64 s[4:5], s[34:35], 3
	s_sub_u32 s33, s44, s4
	s_subb_u32 s35, s45, s5
	s_mul_i32 s4, s31, s6
	s_mul_hi_u32 s5, s30, s6
	s_add_i32 s5, s5, s4
	s_mul_i32 s4, s30, s6
	s_lshl_b64 s[30:31], s[4:5], 10
	s_add_u32 s30, s38, s30
	s_addc_u32 s31, s39, s31
	s_lshl_b64 s[4:5], s[4:5], 12
	s_add_u32 s4, s36, s4
	v_lshlrev_b32_e32 v4, 4, v0
	s_addc_u32 s5, s37, s5
	v_mov_b32_e32 v5, s5
	v_add_co_u32_e32 v4, vcc, s4, v4
	v_addc_co_u32_e32 v5, vcc, 0, v5, vcc
	s_movk_i32 s4, 0x1008
	v_add_co_u32_e32 v7, vcc, s4, v4
	s_movk_i32 s36, 0x100
	s_mov_b64 s[4:5], vcc
	v_add_co_u32_e32 v10, vcc, s36, v8
	v_lshlrev_b32_e32 v3, 2, v0
	v_addc_co_u32_e32 v11, vcc, 0, v9, vcc
	v_mov_b32_e32 v4, s31
	v_add_co_u32_e32 v3, vcc, s30, v3
	v_addc_co_u32_e32 v4, vcc, 0, v4, vcc
	s_movk_i32 s30, 0x400
	v_add_co_u32_e32 v12, vcc, s30, v3
	v_subrev_u32_e32 v22, 64, v17
	v_add_u32_e32 v23, 0xffffff80, v16
	v_add_u32_e32 v24, 0xffffff80, v17
	v_add_u32_e32 v25, 0xffffff00, v16
	v_add_u32_e32 v26, 0xffffff00, v17
	v_add_u32_e32 v27, 0xfffffe00, v16
	v_addc_co_u32_e32 v13, vcc, 0, v4, vcc
	v_add_u32_e32 v9, 0xfffffe00, v17
	v_addc_co_u32_e64 v8, vcc, 0, v5, s[4:5]
	v_add_u32_e32 v28, 0xfffffc00, v16
	s_mov_b64 s[30:31], 0
	v_add_u32_e32 v29, 0xfffffc00, v17
	v_mov_b32_e32 v30, 0
	s_branch .LBB63_41
.LBB63_40:                              ;   in Loop: Header=BB63_41 Depth=1
	s_or_b64 exec, exec, s[36:37]
	v_add_co_u32_e32 v12, vcc, 0x400, v12
	v_addc_co_u32_e32 v13, vcc, 0, v13, vcc
	s_add_u32 s30, s30, 1
	v_add_co_u32_e32 v7, vcc, 0x1000, v7
	s_addc_u32 s31, s31, 0
	v_mov_b32_e32 v14, s30
	v_addc_co_u32_e32 v8, vcc, 0, v8, vcc
	v_mov_b32_e32 v15, s31
	v_add_co_u32_e32 v10, vcc, 0x100, v10
	v_cmp_le_u64_e64 s[4:5], s[42:43], v[14:15]
	v_addc_co_u32_e32 v11, vcc, 0, v11, vcc
	s_and_b64 vcc, exec, s[4:5]
	s_cbranch_vccnz .LBB63_85
.LBB63_41:                              ; =>This Inner Loop Header: Depth=1
	v_cmp_gt_i64_e32 vcc, s[28:29], v[10:11]
	v_mov_b32_e32 v3, -1
	v_mov_b32_e32 v4, -1
	v_mov_b32_e32 v5, 0
	v_mov_b32_e32 v6, 0
	s_and_saveexec_b64 s[4:5], vcc
	s_cbranch_execz .LBB63_43
; %bb.42:                               ;   in Loop: Header=BB63_41 Depth=1
	global_load_dwordx4 v[3:6], v[7:8], off offset:-8 glc slc
	v_mov_b32_e32 v14, s35
	s_waitcnt vmcnt(0)
	v_lshlrev_b64 v[5:6], 3, v[5:6]
	v_add_co_u32_e32 v5, vcc, s33, v5
	v_addc_co_u32_e32 v6, vcc, v14, v6, vcc
	global_load_dwordx2 v[14:15], v[5:6], off
	global_load_dword v31, v[12:13], off glc slc
	v_subrev_co_u32_e32 v3, vcc, s34, v3
	v_subbrev_co_u32_e32 v4, vcc, 0, v4, vcc
	s_waitcnt vmcnt(1)
	v_mul_f32_e32 v5, 0x80000000, v15
	s_waitcnt vmcnt(0)
	v_mul_f32_e32 v6, v31, v15
	v_fmac_f32_e32 v5, v31, v14
	v_fmac_f32_e32 v6, 0, v14
.LBB63_43:                              ;   in Loop: Header=BB63_41 Depth=1
	s_or_b64 exec, exec, s[4:5]
	s_and_saveexec_b64 s[4:5], s[0:1]
	s_cbranch_execz .LBB63_50
; %bb.44:                               ;   in Loop: Header=BB63_41 Depth=1
	ds_read_b64 v[14:15], v30 offset:2040
	s_waitcnt lgkmcnt(0)
	v_cmp_ne_u64_e32 vcc, v[3:4], v[14:15]
	s_and_saveexec_b64 s[36:37], vcc
	s_xor_b64 s[36:37], exec, s[36:37]
	s_cbranch_execz .LBB63_47
; %bb.45:                               ;   in Loop: Header=BB63_41 Depth=1
	v_cmp_gt_i64_e32 vcc, 0, v[14:15]
	s_cbranch_vccnz .LBB63_47
; %bb.46:                               ;   in Loop: Header=BB63_41 Depth=1
	v_lshlrev_b64 v[14:15], 3, v[14:15]
	v_mov_b32_e32 v31, s41
	v_add_co_u32_e32 v14, vcc, s40, v14
	v_addc_co_u32_e32 v15, vcc, v31, v15, vcc
	global_load_dwordx2 v[31:32], v[14:15], off
	ds_read_b64 v[33:34], v30 offset:4088
	s_waitcnt vmcnt(0) lgkmcnt(0)
	v_fma_f32 v31, v1, v33, v31
	v_fmac_f32_e32 v32, v2, v33
	v_fma_f32 v31, -v2, v34, v31
	v_fmac_f32_e32 v32, v1, v34
	global_store_dwordx2 v[14:15], v[31:32], off
.LBB63_47:                              ;   in Loop: Header=BB63_41 Depth=1
	s_andn2_saveexec_b64 s[36:37], s[36:37]
	s_cbranch_execz .LBB63_49
; %bb.48:                               ;   in Loop: Header=BB63_41 Depth=1
	ds_read_b64 v[14:15], v30 offset:4088
	s_waitcnt lgkmcnt(0)
	v_add_f32_e32 v5, v5, v14
	v_add_f32_e32 v6, v6, v15
.LBB63_49:                              ;   in Loop: Header=BB63_41 Depth=1
	s_or_b64 exec, exec, s[36:37]
.LBB63_50:                              ;   in Loop: Header=BB63_41 Depth=1
	s_or_b64 exec, exec, s[4:5]
	s_waitcnt vmcnt(0) lgkmcnt(0)
	s_barrier
	ds_write_b64 v16, v[3:4]
	ds_write_b64 v17, v[5:6]
	s_waitcnt lgkmcnt(0)
	s_barrier
	s_and_saveexec_b64 s[4:5], s[2:3]
	s_cbranch_execz .LBB63_54
; %bb.51:                               ;   in Loop: Header=BB63_41 Depth=1
	ds_read_b64 v[14:15], v18
	s_waitcnt lgkmcnt(0)
	v_cmp_eq_u64_e32 vcc, v[3:4], v[14:15]
	s_and_saveexec_b64 s[36:37], vcc
	s_cbranch_execz .LBB63_53
; %bb.52:                               ;   in Loop: Header=BB63_41 Depth=1
	v_add_u32_e32 v14, -8, v17
	ds_read_b64 v[14:15], v14
	s_waitcnt lgkmcnt(0)
	v_add_f32_e32 v5, v5, v14
	v_add_f32_e32 v6, v6, v15
.LBB63_53:                              ;   in Loop: Header=BB63_41 Depth=1
	s_or_b64 exec, exec, s[36:37]
.LBB63_54:                              ;   in Loop: Header=BB63_41 Depth=1
	s_or_b64 exec, exec, s[4:5]
	s_barrier
	ds_write_b64 v17, v[5:6]
	s_waitcnt lgkmcnt(0)
	s_barrier
	s_and_saveexec_b64 s[4:5], s[22:23]
	s_cbranch_execz .LBB63_58
; %bb.55:                               ;   in Loop: Header=BB63_41 Depth=1
	ds_read_b64 v[14:15], v19
	s_waitcnt lgkmcnt(0)
	v_cmp_eq_u64_e32 vcc, v[3:4], v[14:15]
	s_and_saveexec_b64 s[36:37], vcc
	s_cbranch_execz .LBB63_57
; %bb.56:                               ;   in Loop: Header=BB63_41 Depth=1
	v_add_u32_e32 v14, -16, v17
	ds_read_b64 v[14:15], v14
	s_waitcnt lgkmcnt(0)
	v_add_f32_e32 v5, v5, v14
	v_add_f32_e32 v6, v6, v15
.LBB63_57:                              ;   in Loop: Header=BB63_41 Depth=1
	s_or_b64 exec, exec, s[36:37]
.LBB63_58:                              ;   in Loop: Header=BB63_41 Depth=1
	s_or_b64 exec, exec, s[4:5]
	s_barrier
	ds_write_b64 v17, v[5:6]
	s_waitcnt lgkmcnt(0)
	s_barrier
	s_and_saveexec_b64 s[4:5], s[8:9]
	s_cbranch_execz .LBB63_62
; %bb.59:                               ;   in Loop: Header=BB63_41 Depth=1
	ds_read_b64 v[14:15], v20
	s_waitcnt lgkmcnt(0)
	v_cmp_eq_u64_e32 vcc, v[3:4], v[14:15]
	s_and_saveexec_b64 s[36:37], vcc
	s_cbranch_execz .LBB63_61
; %bb.60:                               ;   in Loop: Header=BB63_41 Depth=1
	v_subrev_u32_e32 v14, 32, v17
	ds_read_b64 v[14:15], v14
	s_waitcnt lgkmcnt(0)
	v_add_f32_e32 v5, v5, v14
	v_add_f32_e32 v6, v6, v15
.LBB63_61:                              ;   in Loop: Header=BB63_41 Depth=1
	s_or_b64 exec, exec, s[36:37]
.LBB63_62:                              ;   in Loop: Header=BB63_41 Depth=1
	s_or_b64 exec, exec, s[4:5]
	s_barrier
	ds_write_b64 v17, v[5:6]
	s_waitcnt lgkmcnt(0)
	s_barrier
	s_and_saveexec_b64 s[4:5], s[10:11]
	s_cbranch_execz .LBB63_66
; %bb.63:                               ;   in Loop: Header=BB63_41 Depth=1
	ds_read_b64 v[14:15], v21
	s_waitcnt lgkmcnt(0)
	v_cmp_eq_u64_e32 vcc, v[3:4], v[14:15]
	s_and_saveexec_b64 s[36:37], vcc
	s_cbranch_execz .LBB63_65
; %bb.64:                               ;   in Loop: Header=BB63_41 Depth=1
	ds_read_b64 v[14:15], v22
	s_waitcnt lgkmcnt(0)
	v_add_f32_e32 v5, v5, v14
	v_add_f32_e32 v6, v6, v15
.LBB63_65:                              ;   in Loop: Header=BB63_41 Depth=1
	s_or_b64 exec, exec, s[36:37]
.LBB63_66:                              ;   in Loop: Header=BB63_41 Depth=1
	s_or_b64 exec, exec, s[4:5]
	s_barrier
	ds_write_b64 v17, v[5:6]
	s_waitcnt lgkmcnt(0)
	s_barrier
	s_and_saveexec_b64 s[4:5], s[12:13]
	s_cbranch_execz .LBB63_70
; %bb.67:                               ;   in Loop: Header=BB63_41 Depth=1
	ds_read_b64 v[14:15], v23
	s_waitcnt lgkmcnt(0)
	v_cmp_eq_u64_e32 vcc, v[3:4], v[14:15]
	s_and_saveexec_b64 s[36:37], vcc
	s_cbranch_execz .LBB63_69
; %bb.68:                               ;   in Loop: Header=BB63_41 Depth=1
	ds_read_b64 v[14:15], v24
	s_waitcnt lgkmcnt(0)
	v_add_f32_e32 v5, v5, v14
	v_add_f32_e32 v6, v6, v15
.LBB63_69:                              ;   in Loop: Header=BB63_41 Depth=1
	s_or_b64 exec, exec, s[36:37]
.LBB63_70:                              ;   in Loop: Header=BB63_41 Depth=1
	;; [unrolled: 21-line block ×5, first 2 shown]
	s_or_b64 exec, exec, s[4:5]
	s_barrier
	ds_write_b64 v17, v[5:6]
	s_waitcnt lgkmcnt(0)
	s_barrier
	s_and_saveexec_b64 s[36:37], s[20:21]
	s_cbranch_execz .LBB63_40
; %bb.83:                               ;   in Loop: Header=BB63_41 Depth=1
	ds_read_b64 v[14:15], v16 offset:8
	v_cmp_lt_i64_e64 s[4:5], -1, v[3:4]
	s_waitcnt lgkmcnt(0)
	v_cmp_ne_u64_e32 vcc, v[3:4], v[14:15]
	s_and_b64 s[4:5], s[4:5], vcc
	s_and_b64 exec, exec, s[4:5]
	s_cbranch_execz .LBB63_40
; %bb.84:                               ;   in Loop: Header=BB63_41 Depth=1
	v_lshlrev_b64 v[14:15], 3, v[3:4]
	v_mov_b32_e32 v31, s41
	v_add_co_u32_e32 v14, vcc, s40, v14
	v_addc_co_u32_e32 v15, vcc, v31, v15, vcc
	global_load_dwordx2 v[31:32], v[14:15], off
	s_waitcnt vmcnt(0)
	v_fma_f32 v31, v1, v5, v31
	v_fmac_f32_e32 v32, v2, v5
	v_fma_f32 v31, -v2, v6, v31
	v_fmac_f32_e32 v32, v1, v6
	global_store_dwordx2 v[14:15], v[31:32], off
	s_branch .LBB63_40
.LBB63_85:
	s_movk_i32 s0, 0xff
	v_cmp_eq_u32_e32 vcc, s0, v0
	s_and_b64 exec, exec, vcc
	s_cbranch_execz .LBB63_87
; %bb.86:
	s_lshl_b64 s[0:1], s[6:7], 3
	s_waitcnt lgkmcnt(0)
	s_add_u32 s2, s26, s0
	s_addc_u32 s3, s27, s1
	s_add_u32 s0, s24, s0
	v_mov_b32_e32 v0, 0
	v_mul_f32_e32 v7, v1, v6
	v_mul_f32_e64 v6, v6, -v2
	s_addc_u32 s1, s25, s1
	v_fmac_f32_e32 v7, v2, v5
	v_fmac_f32_e32 v6, v1, v5
	global_store_dwordx2 v0, v[3:4], s[0:1] glc slc
	global_store_dwordx2 v0, v[6:7], s[2:3] glc slc
.LBB63_87:
	s_endpgm
	.section	.rodata,"a",@progbits
	.p2align	6, 0x0
	.amdhsa_kernel _ZN9rocsparseL26coomvn_aos_segmented_loopsILj256Elf21rocsparse_complex_numIfES2_S2_EEvlT0_NS_24const_host_device_scalarIT4_EEPKS3_PKT1_PKT2_PT3_PS3_PS5_21rocsparse_index_base_b
		.amdhsa_group_segment_fixed_size 4096
		.amdhsa_private_segment_fixed_size 0
		.amdhsa_kernarg_size 80
		.amdhsa_user_sgpr_count 6
		.amdhsa_user_sgpr_private_segment_buffer 1
		.amdhsa_user_sgpr_dispatch_ptr 0
		.amdhsa_user_sgpr_queue_ptr 0
		.amdhsa_user_sgpr_kernarg_segment_ptr 1
		.amdhsa_user_sgpr_dispatch_id 0
		.amdhsa_user_sgpr_flat_scratch_init 0
		.amdhsa_user_sgpr_private_segment_size 0
		.amdhsa_uses_dynamic_stack 0
		.amdhsa_system_sgpr_private_segment_wavefront_offset 0
		.amdhsa_system_sgpr_workgroup_id_x 1
		.amdhsa_system_sgpr_workgroup_id_y 0
		.amdhsa_system_sgpr_workgroup_id_z 0
		.amdhsa_system_sgpr_workgroup_info 0
		.amdhsa_system_vgpr_workitem_id 0
		.amdhsa_next_free_vgpr 35
		.amdhsa_next_free_sgpr 46
		.amdhsa_reserve_vcc 1
		.amdhsa_reserve_flat_scratch 0
		.amdhsa_float_round_mode_32 0
		.amdhsa_float_round_mode_16_64 0
		.amdhsa_float_denorm_mode_32 3
		.amdhsa_float_denorm_mode_16_64 3
		.amdhsa_dx10_clamp 1
		.amdhsa_ieee_mode 1
		.amdhsa_fp16_overflow 0
		.amdhsa_exception_fp_ieee_invalid_op 0
		.amdhsa_exception_fp_denorm_src 0
		.amdhsa_exception_fp_ieee_div_zero 0
		.amdhsa_exception_fp_ieee_overflow 0
		.amdhsa_exception_fp_ieee_underflow 0
		.amdhsa_exception_fp_ieee_inexact 0
		.amdhsa_exception_int_div_zero 0
	.end_amdhsa_kernel
	.section	.text._ZN9rocsparseL26coomvn_aos_segmented_loopsILj256Elf21rocsparse_complex_numIfES2_S2_EEvlT0_NS_24const_host_device_scalarIT4_EEPKS3_PKT1_PKT2_PT3_PS3_PS5_21rocsparse_index_base_b,"axG",@progbits,_ZN9rocsparseL26coomvn_aos_segmented_loopsILj256Elf21rocsparse_complex_numIfES2_S2_EEvlT0_NS_24const_host_device_scalarIT4_EEPKS3_PKT1_PKT2_PT3_PS3_PS5_21rocsparse_index_base_b,comdat
.Lfunc_end63:
	.size	_ZN9rocsparseL26coomvn_aos_segmented_loopsILj256Elf21rocsparse_complex_numIfES2_S2_EEvlT0_NS_24const_host_device_scalarIT4_EEPKS3_PKT1_PKT2_PT3_PS3_PS5_21rocsparse_index_base_b, .Lfunc_end63-_ZN9rocsparseL26coomvn_aos_segmented_loopsILj256Elf21rocsparse_complex_numIfES2_S2_EEvlT0_NS_24const_host_device_scalarIT4_EEPKS3_PKT1_PKT2_PT3_PS3_PS5_21rocsparse_index_base_b
                                        ; -- End function
	.set _ZN9rocsparseL26coomvn_aos_segmented_loopsILj256Elf21rocsparse_complex_numIfES2_S2_EEvlT0_NS_24const_host_device_scalarIT4_EEPKS3_PKT1_PKT2_PT3_PS3_PS5_21rocsparse_index_base_b.num_vgpr, 35
	.set _ZN9rocsparseL26coomvn_aos_segmented_loopsILj256Elf21rocsparse_complex_numIfES2_S2_EEvlT0_NS_24const_host_device_scalarIT4_EEPKS3_PKT1_PKT2_PT3_PS3_PS5_21rocsparse_index_base_b.num_agpr, 0
	.set _ZN9rocsparseL26coomvn_aos_segmented_loopsILj256Elf21rocsparse_complex_numIfES2_S2_EEvlT0_NS_24const_host_device_scalarIT4_EEPKS3_PKT1_PKT2_PT3_PS3_PS5_21rocsparse_index_base_b.numbered_sgpr, 46
	.set _ZN9rocsparseL26coomvn_aos_segmented_loopsILj256Elf21rocsparse_complex_numIfES2_S2_EEvlT0_NS_24const_host_device_scalarIT4_EEPKS3_PKT1_PKT2_PT3_PS3_PS5_21rocsparse_index_base_b.num_named_barrier, 0
	.set _ZN9rocsparseL26coomvn_aos_segmented_loopsILj256Elf21rocsparse_complex_numIfES2_S2_EEvlT0_NS_24const_host_device_scalarIT4_EEPKS3_PKT1_PKT2_PT3_PS3_PS5_21rocsparse_index_base_b.private_seg_size, 0
	.set _ZN9rocsparseL26coomvn_aos_segmented_loopsILj256Elf21rocsparse_complex_numIfES2_S2_EEvlT0_NS_24const_host_device_scalarIT4_EEPKS3_PKT1_PKT2_PT3_PS3_PS5_21rocsparse_index_base_b.uses_vcc, 1
	.set _ZN9rocsparseL26coomvn_aos_segmented_loopsILj256Elf21rocsparse_complex_numIfES2_S2_EEvlT0_NS_24const_host_device_scalarIT4_EEPKS3_PKT1_PKT2_PT3_PS3_PS5_21rocsparse_index_base_b.uses_flat_scratch, 0
	.set _ZN9rocsparseL26coomvn_aos_segmented_loopsILj256Elf21rocsparse_complex_numIfES2_S2_EEvlT0_NS_24const_host_device_scalarIT4_EEPKS3_PKT1_PKT2_PT3_PS3_PS5_21rocsparse_index_base_b.has_dyn_sized_stack, 0
	.set _ZN9rocsparseL26coomvn_aos_segmented_loopsILj256Elf21rocsparse_complex_numIfES2_S2_EEvlT0_NS_24const_host_device_scalarIT4_EEPKS3_PKT1_PKT2_PT3_PS3_PS5_21rocsparse_index_base_b.has_recursion, 0
	.set _ZN9rocsparseL26coomvn_aos_segmented_loopsILj256Elf21rocsparse_complex_numIfES2_S2_EEvlT0_NS_24const_host_device_scalarIT4_EEPKS3_PKT1_PKT2_PT3_PS3_PS5_21rocsparse_index_base_b.has_indirect_call, 0
	.section	.AMDGPU.csdata,"",@progbits
; Kernel info:
; codeLenInByte = 2760
; TotalNumSgprs: 50
; NumVgprs: 35
; ScratchSize: 0
; MemoryBound: 0
; FloatMode: 240
; IeeeMode: 1
; LDSByteSize: 4096 bytes/workgroup (compile time only)
; SGPRBlocks: 6
; VGPRBlocks: 8
; NumSGPRsForWavesPerEU: 50
; NumVGPRsForWavesPerEU: 35
; Occupancy: 7
; WaveLimiterHint : 1
; COMPUTE_PGM_RSRC2:SCRATCH_EN: 0
; COMPUTE_PGM_RSRC2:USER_SGPR: 6
; COMPUTE_PGM_RSRC2:TRAP_HANDLER: 0
; COMPUTE_PGM_RSRC2:TGID_X_EN: 1
; COMPUTE_PGM_RSRC2:TGID_Y_EN: 0
; COMPUTE_PGM_RSRC2:TGID_Z_EN: 0
; COMPUTE_PGM_RSRC2:TIDIG_COMP_CNT: 0
	.section	.text._ZN9rocsparseL23coomvn_aos_atomic_loopsILj256ELj1Eid21rocsparse_complex_numIdES2_S2_EEvlNS_24const_host_device_scalarIT5_EEPKT1_PKT2_PKT3_PT4_21rocsparse_index_base_b,"axG",@progbits,_ZN9rocsparseL23coomvn_aos_atomic_loopsILj256ELj1Eid21rocsparse_complex_numIdES2_S2_EEvlNS_24const_host_device_scalarIT5_EEPKT1_PKT2_PKT3_PT4_21rocsparse_index_base_b,comdat
	.globl	_ZN9rocsparseL23coomvn_aos_atomic_loopsILj256ELj1Eid21rocsparse_complex_numIdES2_S2_EEvlNS_24const_host_device_scalarIT5_EEPKT1_PKT2_PKT3_PT4_21rocsparse_index_base_b ; -- Begin function _ZN9rocsparseL23coomvn_aos_atomic_loopsILj256ELj1Eid21rocsparse_complex_numIdES2_S2_EEvlNS_24const_host_device_scalarIT5_EEPKT1_PKT2_PKT3_PT4_21rocsparse_index_base_b
	.p2align	8
	.type	_ZN9rocsparseL23coomvn_aos_atomic_loopsILj256ELj1Eid21rocsparse_complex_numIdES2_S2_EEvlNS_24const_host_device_scalarIT5_EEPKT1_PKT2_PKT3_PT4_21rocsparse_index_base_b,@function
_ZN9rocsparseL23coomvn_aos_atomic_loopsILj256ELj1Eid21rocsparse_complex_numIdES2_S2_EEvlNS_24const_host_device_scalarIT5_EEPKT1_PKT2_PKT3_PT4_21rocsparse_index_base_b: ; @_ZN9rocsparseL23coomvn_aos_atomic_loopsILj256ELj1Eid21rocsparse_complex_numIdES2_S2_EEvlNS_24const_host_device_scalarIT5_EEPKT1_PKT2_PKT3_PT4_21rocsparse_index_base_b
; %bb.0:
	s_load_dwordx2 s[2:3], s[4:5], 0x38
	s_load_dwordx4 s[8:11], s[4:5], 0x0
	s_or_b32 s0, s4, 8
	s_waitcnt lgkmcnt(0)
	s_bitcmp1_b32 s3, 0
	s_cselect_b32 s1, s5, s11
	s_cselect_b32 s0, s0, s10
	v_mov_b32_e32 v1, s0
	v_mov_b32_e32 v2, s1
	flat_load_dwordx4 v[1:4], v[1:2]
	s_waitcnt vmcnt(0) lgkmcnt(0)
	v_cmp_neq_f64_e32 vcc, 0, v[1:2]
	v_cmp_neq_f64_e64 s[0:1], 0, v[3:4]
	s_or_b64 s[0:1], vcc, s[0:1]
	s_and_saveexec_b64 s[10:11], s[0:1]
	s_cbranch_execz .LBB64_46
; %bb.1:
	v_mov_b32_e32 v5, 0
	v_lshl_or_b32 v9, s6, 8, v0
	v_mov_b32_e32 v10, 0
	v_mov_b32_e32 v6, 0
	v_cmp_gt_i64_e32 vcc, s[8:9], v[9:10]
	v_mov_b32_e32 v8, v6
	v_mov_b32_e32 v13, -1
	v_mov_b32_e32 v7, v5
	s_and_saveexec_b64 s[0:1], vcc
	s_cbranch_execz .LBB64_3
; %bb.2:
	s_load_dwordx4 s[8:11], s[4:5], 0x18
	s_load_dwordx2 s[6:7], s[4:5], 0x28
	v_lshlrev_b64 v[5:6], 3, v[9:10]
	s_waitcnt lgkmcnt(0)
	v_mov_b32_e32 v8, s9
	v_add_co_u32_e32 v7, vcc, s8, v5
	v_addc_co_u32_e32 v8, vcc, v8, v6, vcc
	global_load_dwordx2 v[11:12], v[7:8], off glc slc
	v_mov_b32_e32 v7, s11
	v_add_co_u32_e32 v5, vcc, s10, v5
	v_addc_co_u32_e32 v6, vcc, v7, v6, vcc
	v_mov_b32_e32 v9, s7
	s_waitcnt vmcnt(0)
	v_subrev_u32_e32 v7, s2, v12
	v_ashrrev_i32_e32 v8, 31, v7
	v_lshlrev_b64 v[7:8], 4, v[7:8]
	v_add_co_u32_e32 v12, vcc, s6, v7
	v_addc_co_u32_e32 v13, vcc, v9, v8, vcc
	global_load_dwordx4 v[7:10], v[12:13], off
	global_load_dwordx2 v[14:15], v[5:6], off glc slc
	s_mov_b32 s6, 0
	s_brev_b32 s7, 1
	v_subrev_u32_e32 v13, s2, v11
	s_waitcnt vmcnt(1)
	v_mul_f64 v[5:6], v[9:10], s[6:7]
	s_waitcnt vmcnt(0)
	v_mul_f64 v[9:10], v[14:15], v[9:10]
	v_fma_f64 v[5:6], v[14:15], v[7:8], v[5:6]
	v_fma_f64 v[7:8], v[7:8], 0, v[9:10]
.LBB64_3:
	s_or_b64 exec, exec, s[0:1]
	v_lshlrev_b32_e32 v10, 2, v0
	v_or_b32_e32 v9, 0x1000, v10
	ds_write_b32 v10, v13 offset:4096
	v_lshlrev_b32_e32 v10, 4, v0
	v_cmp_ne_u32_e32 vcc, 0, v0
	ds_write_b128 v10, v[5:8]
	s_waitcnt lgkmcnt(0)
	s_barrier
	s_and_saveexec_b64 s[0:1], vcc
	s_cbranch_execz .LBB64_7
; %bb.4:
	v_add_u32_e32 v11, -4, v9
	ds_read_b32 v11, v11
	s_waitcnt lgkmcnt(0)
	v_cmp_eq_u32_e32 vcc, v13, v11
	s_and_saveexec_b64 s[2:3], vcc
	s_cbranch_execz .LBB64_6
; %bb.5:
	v_add_u32_e32 v11, -16, v10
	ds_read_b128 v[14:17], v11
	s_waitcnt lgkmcnt(0)
	v_add_f64 v[5:6], v[5:6], v[14:15]
	v_add_f64 v[7:8], v[7:8], v[16:17]
.LBB64_6:
	s_or_b64 exec, exec, s[2:3]
.LBB64_7:
	s_or_b64 exec, exec, s[0:1]
	v_cmp_lt_u32_e32 vcc, 1, v0
	s_barrier
	ds_write_b128 v10, v[5:8]
	s_waitcnt lgkmcnt(0)
	s_barrier
	s_and_saveexec_b64 s[0:1], vcc
	s_cbranch_execz .LBB64_11
; %bb.8:
	v_add_u32_e32 v11, -8, v9
	ds_read_b32 v11, v11
	s_waitcnt lgkmcnt(0)
	v_cmp_eq_u32_e32 vcc, v13, v11
	s_and_saveexec_b64 s[2:3], vcc
	s_cbranch_execz .LBB64_10
; %bb.9:
	v_subrev_u32_e32 v11, 32, v10
	ds_read_b128 v[14:17], v11
	s_waitcnt lgkmcnt(0)
	v_add_f64 v[5:6], v[5:6], v[14:15]
	v_add_f64 v[7:8], v[7:8], v[16:17]
.LBB64_10:
	s_or_b64 exec, exec, s[2:3]
.LBB64_11:
	s_or_b64 exec, exec, s[0:1]
	v_cmp_lt_u32_e32 vcc, 3, v0
	s_barrier
	ds_write_b128 v10, v[5:8]
	s_waitcnt lgkmcnt(0)
	s_barrier
	s_and_saveexec_b64 s[0:1], vcc
	s_cbranch_execz .LBB64_15
; %bb.12:
	v_add_u32_e32 v11, -16, v9
	ds_read_b32 v11, v11
	s_waitcnt lgkmcnt(0)
	v_cmp_eq_u32_e32 vcc, v13, v11
	s_and_saveexec_b64 s[2:3], vcc
	s_cbranch_execz .LBB64_14
; %bb.13:
	v_subrev_u32_e32 v11, 64, v10
	ds_read_b128 v[14:17], v11
	s_waitcnt lgkmcnt(0)
	v_add_f64 v[5:6], v[5:6], v[14:15]
	v_add_f64 v[7:8], v[7:8], v[16:17]
.LBB64_14:
	s_or_b64 exec, exec, s[2:3]
.LBB64_15:
	s_or_b64 exec, exec, s[0:1]
	v_cmp_lt_u32_e32 vcc, 7, v0
	s_barrier
	ds_write_b128 v10, v[5:8]
	s_waitcnt lgkmcnt(0)
	s_barrier
	s_and_saveexec_b64 s[0:1], vcc
	s_cbranch_execz .LBB64_19
; %bb.16:
	v_subrev_u32_e32 v11, 32, v9
	ds_read_b32 v11, v11
	s_waitcnt lgkmcnt(0)
	v_cmp_eq_u32_e32 vcc, v13, v11
	s_and_saveexec_b64 s[2:3], vcc
	s_cbranch_execz .LBB64_18
; %bb.17:
	v_add_u32_e32 v11, 0xffffff80, v10
	ds_read_b128 v[14:17], v11
	s_waitcnt lgkmcnt(0)
	v_add_f64 v[5:6], v[5:6], v[14:15]
	v_add_f64 v[7:8], v[7:8], v[16:17]
.LBB64_18:
	s_or_b64 exec, exec, s[2:3]
.LBB64_19:
	s_or_b64 exec, exec, s[0:1]
	v_cmp_lt_u32_e32 vcc, 15, v0
	s_barrier
	ds_write_b128 v10, v[5:8]
	s_waitcnt lgkmcnt(0)
	s_barrier
	s_and_saveexec_b64 s[0:1], vcc
	s_cbranch_execz .LBB64_23
; %bb.20:
	v_subrev_u32_e32 v11, 64, v9
	ds_read_b32 v11, v11
	s_waitcnt lgkmcnt(0)
	v_cmp_eq_u32_e32 vcc, v13, v11
	s_and_saveexec_b64 s[2:3], vcc
	s_cbranch_execz .LBB64_22
; %bb.21:
	v_add_u32_e32 v11, 0xffffff00, v10
	ds_read_b128 v[14:17], v11
	s_waitcnt lgkmcnt(0)
	v_add_f64 v[5:6], v[5:6], v[14:15]
	v_add_f64 v[7:8], v[7:8], v[16:17]
.LBB64_22:
	s_or_b64 exec, exec, s[2:3]
.LBB64_23:
	s_or_b64 exec, exec, s[0:1]
	v_cmp_lt_u32_e32 vcc, 31, v0
	s_barrier
	ds_write_b128 v10, v[5:8]
	s_waitcnt lgkmcnt(0)
	s_barrier
	s_and_saveexec_b64 s[0:1], vcc
	s_cbranch_execz .LBB64_27
; %bb.24:
	v_add_u32_e32 v11, 0xffffff80, v9
	ds_read_b32 v11, v11
	s_waitcnt lgkmcnt(0)
	v_cmp_eq_u32_e32 vcc, v13, v11
	s_and_saveexec_b64 s[2:3], vcc
	s_cbranch_execz .LBB64_26
; %bb.25:
	v_add_u32_e32 v11, 0xfffffe00, v10
	ds_read_b128 v[14:17], v11
	s_waitcnt lgkmcnt(0)
	v_add_f64 v[5:6], v[5:6], v[14:15]
	v_add_f64 v[7:8], v[7:8], v[16:17]
.LBB64_26:
	s_or_b64 exec, exec, s[2:3]
.LBB64_27:
	s_or_b64 exec, exec, s[0:1]
	v_cmp_lt_u32_e32 vcc, 63, v0
	s_barrier
	ds_write_b128 v10, v[5:8]
	s_waitcnt lgkmcnt(0)
	s_barrier
	s_and_saveexec_b64 s[0:1], vcc
	s_cbranch_execz .LBB64_31
; %bb.28:
	v_add_u32_e32 v11, 0xffffff00, v9
	ds_read_b32 v11, v11
	s_waitcnt lgkmcnt(0)
	v_cmp_eq_u32_e32 vcc, v13, v11
	s_and_saveexec_b64 s[2:3], vcc
	s_cbranch_execz .LBB64_30
; %bb.29:
	v_add_u32_e32 v11, 0xfffffc00, v10
	ds_read_b128 v[14:17], v11
	s_waitcnt lgkmcnt(0)
	v_add_f64 v[5:6], v[5:6], v[14:15]
	v_add_f64 v[7:8], v[7:8], v[16:17]
.LBB64_30:
	s_or_b64 exec, exec, s[2:3]
.LBB64_31:
	s_or_b64 exec, exec, s[0:1]
	s_load_dwordx2 s[2:3], s[4:5], 0x30
	s_movk_i32 s0, 0x7f
	v_cmp_lt_u32_e32 vcc, s0, v0
	s_waitcnt lgkmcnt(0)
	s_barrier
	ds_write_b128 v10, v[5:8]
	s_waitcnt lgkmcnt(0)
	s_barrier
	s_and_saveexec_b64 s[0:1], vcc
	s_cbranch_execz .LBB64_35
; %bb.32:
	v_add_u32_e32 v11, 0xfffffe00, v9
	ds_read_b32 v11, v11
	s_waitcnt lgkmcnt(0)
	v_cmp_eq_u32_e32 vcc, v13, v11
	s_and_saveexec_b64 s[4:5], vcc
	s_cbranch_execz .LBB64_34
; %bb.33:
	v_add_u32_e32 v11, 0xfffff800, v10
	ds_read_b128 v[14:17], v11
	s_waitcnt lgkmcnt(0)
	v_add_f64 v[5:6], v[5:6], v[14:15]
	v_add_f64 v[7:8], v[7:8], v[16:17]
.LBB64_34:
	s_or_b64 exec, exec, s[4:5]
.LBB64_35:
	s_or_b64 exec, exec, s[0:1]
	s_movk_i32 s6, 0xff
	v_cmp_gt_u32_e32 vcc, s6, v0
	s_barrier
	ds_write_b128 v10, v[5:8]
	s_waitcnt lgkmcnt(0)
	s_barrier
	s_and_saveexec_b64 s[4:5], vcc
	s_cbranch_execz .LBB64_41
; %bb.36:
	ds_read_b32 v9, v9 offset:4
	v_cmp_lt_i32_e64 s[0:1], -1, v13
	s_waitcnt lgkmcnt(0)
	v_cmp_ne_u32_e32 vcc, v13, v9
	s_and_b64 s[0:1], s[0:1], vcc
	s_and_b64 exec, exec, s[0:1]
	s_cbranch_execz .LBB64_41
; %bb.37:
	v_mov_b32_e32 v14, 0
	v_lshlrev_b64 v[9:10], 4, v[13:14]
	v_mov_b32_e32 v11, s3
	v_add_co_u32_e32 v14, vcc, s2, v9
	v_addc_co_u32_e32 v15, vcc, v11, v10, vcc
	global_load_dwordx2 v[11:12], v[14:15], off
	v_mul_f64 v[9:10], v[7:8], -v[3:4]
	s_mov_b64 s[0:1], 0
	v_fma_f64 v[16:17], v[1:2], v[5:6], v[9:10]
.LBB64_38:                              ; =>This Inner Loop Header: Depth=1
	s_waitcnt vmcnt(0)
	v_add_f64 v[9:10], v[11:12], v[16:17]
	global_atomic_cmpswap_x2 v[9:10], v[14:15], v[9:12], off glc
	s_waitcnt vmcnt(0)
	v_cmp_eq_u64_e32 vcc, v[9:10], v[11:12]
	v_mov_b32_e32 v12, v10
	s_or_b64 s[0:1], vcc, s[0:1]
	v_mov_b32_e32 v11, v9
	s_andn2_b64 exec, exec, s[0:1]
	s_cbranch_execnz .LBB64_38
; %bb.39:
	s_or_b64 exec, exec, s[0:1]
	global_load_dwordx2 v[11:12], v[14:15], off offset:8
	v_mul_f64 v[9:10], v[1:2], v[7:8]
	s_mov_b64 s[0:1], 0
	v_fma_f64 v[16:17], v[3:4], v[5:6], v[9:10]
.LBB64_40:                              ; =>This Inner Loop Header: Depth=1
	s_waitcnt vmcnt(0)
	v_add_f64 v[9:10], v[11:12], v[16:17]
	global_atomic_cmpswap_x2 v[9:10], v[14:15], v[9:12], off offset:8 glc
	s_waitcnt vmcnt(0)
	v_cmp_eq_u64_e32 vcc, v[9:10], v[11:12]
	v_mov_b32_e32 v12, v10
	s_or_b64 s[0:1], vcc, s[0:1]
	v_mov_b32_e32 v11, v9
	s_andn2_b64 exec, exec, s[0:1]
	s_cbranch_execnz .LBB64_40
.LBB64_41:
	s_or_b64 exec, exec, s[4:5]
	v_cmp_eq_u32_e32 vcc, s6, v0
	v_cmp_lt_i32_e64 s[0:1], -1, v13
	s_and_b64 s[0:1], vcc, s[0:1]
	s_and_b64 exec, exec, s[0:1]
	s_cbranch_execz .LBB64_46
; %bb.42:
	v_mov_b32_e32 v14, 0
	v_lshlrev_b64 v[9:10], 4, v[13:14]
	v_mov_b32_e32 v0, s3
	v_add_co_u32_e32 v13, vcc, s2, v9
	v_addc_co_u32_e32 v14, vcc, v0, v10, vcc
	global_load_dwordx2 v[11:12], v[13:14], off
	v_mul_f64 v[9:10], v[7:8], -v[3:4]
	s_mov_b64 s[0:1], 0
	v_fma_f64 v[15:16], v[1:2], v[5:6], v[9:10]
.LBB64_43:                              ; =>This Inner Loop Header: Depth=1
	s_waitcnt vmcnt(0)
	v_add_f64 v[9:10], v[11:12], v[15:16]
	global_atomic_cmpswap_x2 v[9:10], v[13:14], v[9:12], off glc
	s_waitcnt vmcnt(0)
	v_cmp_eq_u64_e32 vcc, v[9:10], v[11:12]
	v_mov_b32_e32 v12, v10
	s_or_b64 s[0:1], vcc, s[0:1]
	v_mov_b32_e32 v11, v9
	s_andn2_b64 exec, exec, s[0:1]
	s_cbranch_execnz .LBB64_43
; %bb.44:
	s_or_b64 exec, exec, s[0:1]
	global_load_dwordx2 v[9:10], v[13:14], off offset:8
	v_mul_f64 v[0:1], v[1:2], v[7:8]
	s_mov_b64 s[0:1], 0
	v_fma_f64 v[0:1], v[3:4], v[5:6], v[0:1]
.LBB64_45:                              ; =>This Inner Loop Header: Depth=1
	s_waitcnt vmcnt(0)
	v_add_f64 v[7:8], v[9:10], v[0:1]
	global_atomic_cmpswap_x2 v[2:3], v[13:14], v[7:10], off offset:8 glc
	s_waitcnt vmcnt(0)
	v_cmp_eq_u64_e32 vcc, v[2:3], v[9:10]
	v_mov_b32_e32 v10, v3
	s_or_b64 s[0:1], vcc, s[0:1]
	v_mov_b32_e32 v9, v2
	s_andn2_b64 exec, exec, s[0:1]
	s_cbranch_execnz .LBB64_45
.LBB64_46:
	s_endpgm
	.section	.rodata,"a",@progbits
	.p2align	6, 0x0
	.amdhsa_kernel _ZN9rocsparseL23coomvn_aos_atomic_loopsILj256ELj1Eid21rocsparse_complex_numIdES2_S2_EEvlNS_24const_host_device_scalarIT5_EEPKT1_PKT2_PKT3_PT4_21rocsparse_index_base_b
		.amdhsa_group_segment_fixed_size 5120
		.amdhsa_private_segment_fixed_size 0
		.amdhsa_kernarg_size 64
		.amdhsa_user_sgpr_count 6
		.amdhsa_user_sgpr_private_segment_buffer 1
		.amdhsa_user_sgpr_dispatch_ptr 0
		.amdhsa_user_sgpr_queue_ptr 0
		.amdhsa_user_sgpr_kernarg_segment_ptr 1
		.amdhsa_user_sgpr_dispatch_id 0
		.amdhsa_user_sgpr_flat_scratch_init 0
		.amdhsa_user_sgpr_private_segment_size 0
		.amdhsa_uses_dynamic_stack 0
		.amdhsa_system_sgpr_private_segment_wavefront_offset 0
		.amdhsa_system_sgpr_workgroup_id_x 1
		.amdhsa_system_sgpr_workgroup_id_y 0
		.amdhsa_system_sgpr_workgroup_id_z 0
		.amdhsa_system_sgpr_workgroup_info 0
		.amdhsa_system_vgpr_workitem_id 0
		.amdhsa_next_free_vgpr 18
		.amdhsa_next_free_sgpr 12
		.amdhsa_reserve_vcc 1
		.amdhsa_reserve_flat_scratch 0
		.amdhsa_float_round_mode_32 0
		.amdhsa_float_round_mode_16_64 0
		.amdhsa_float_denorm_mode_32 3
		.amdhsa_float_denorm_mode_16_64 3
		.amdhsa_dx10_clamp 1
		.amdhsa_ieee_mode 1
		.amdhsa_fp16_overflow 0
		.amdhsa_exception_fp_ieee_invalid_op 0
		.amdhsa_exception_fp_denorm_src 0
		.amdhsa_exception_fp_ieee_div_zero 0
		.amdhsa_exception_fp_ieee_overflow 0
		.amdhsa_exception_fp_ieee_underflow 0
		.amdhsa_exception_fp_ieee_inexact 0
		.amdhsa_exception_int_div_zero 0
	.end_amdhsa_kernel
	.section	.text._ZN9rocsparseL23coomvn_aos_atomic_loopsILj256ELj1Eid21rocsparse_complex_numIdES2_S2_EEvlNS_24const_host_device_scalarIT5_EEPKT1_PKT2_PKT3_PT4_21rocsparse_index_base_b,"axG",@progbits,_ZN9rocsparseL23coomvn_aos_atomic_loopsILj256ELj1Eid21rocsparse_complex_numIdES2_S2_EEvlNS_24const_host_device_scalarIT5_EEPKT1_PKT2_PKT3_PT4_21rocsparse_index_base_b,comdat
.Lfunc_end64:
	.size	_ZN9rocsparseL23coomvn_aos_atomic_loopsILj256ELj1Eid21rocsparse_complex_numIdES2_S2_EEvlNS_24const_host_device_scalarIT5_EEPKT1_PKT2_PKT3_PT4_21rocsparse_index_base_b, .Lfunc_end64-_ZN9rocsparseL23coomvn_aos_atomic_loopsILj256ELj1Eid21rocsparse_complex_numIdES2_S2_EEvlNS_24const_host_device_scalarIT5_EEPKT1_PKT2_PKT3_PT4_21rocsparse_index_base_b
                                        ; -- End function
	.set _ZN9rocsparseL23coomvn_aos_atomic_loopsILj256ELj1Eid21rocsparse_complex_numIdES2_S2_EEvlNS_24const_host_device_scalarIT5_EEPKT1_PKT2_PKT3_PT4_21rocsparse_index_base_b.num_vgpr, 18
	.set _ZN9rocsparseL23coomvn_aos_atomic_loopsILj256ELj1Eid21rocsparse_complex_numIdES2_S2_EEvlNS_24const_host_device_scalarIT5_EEPKT1_PKT2_PKT3_PT4_21rocsparse_index_base_b.num_agpr, 0
	.set _ZN9rocsparseL23coomvn_aos_atomic_loopsILj256ELj1Eid21rocsparse_complex_numIdES2_S2_EEvlNS_24const_host_device_scalarIT5_EEPKT1_PKT2_PKT3_PT4_21rocsparse_index_base_b.numbered_sgpr, 12
	.set _ZN9rocsparseL23coomvn_aos_atomic_loopsILj256ELj1Eid21rocsparse_complex_numIdES2_S2_EEvlNS_24const_host_device_scalarIT5_EEPKT1_PKT2_PKT3_PT4_21rocsparse_index_base_b.num_named_barrier, 0
	.set _ZN9rocsparseL23coomvn_aos_atomic_loopsILj256ELj1Eid21rocsparse_complex_numIdES2_S2_EEvlNS_24const_host_device_scalarIT5_EEPKT1_PKT2_PKT3_PT4_21rocsparse_index_base_b.private_seg_size, 0
	.set _ZN9rocsparseL23coomvn_aos_atomic_loopsILj256ELj1Eid21rocsparse_complex_numIdES2_S2_EEvlNS_24const_host_device_scalarIT5_EEPKT1_PKT2_PKT3_PT4_21rocsparse_index_base_b.uses_vcc, 1
	.set _ZN9rocsparseL23coomvn_aos_atomic_loopsILj256ELj1Eid21rocsparse_complex_numIdES2_S2_EEvlNS_24const_host_device_scalarIT5_EEPKT1_PKT2_PKT3_PT4_21rocsparse_index_base_b.uses_flat_scratch, 0
	.set _ZN9rocsparseL23coomvn_aos_atomic_loopsILj256ELj1Eid21rocsparse_complex_numIdES2_S2_EEvlNS_24const_host_device_scalarIT5_EEPKT1_PKT2_PKT3_PT4_21rocsparse_index_base_b.has_dyn_sized_stack, 0
	.set _ZN9rocsparseL23coomvn_aos_atomic_loopsILj256ELj1Eid21rocsparse_complex_numIdES2_S2_EEvlNS_24const_host_device_scalarIT5_EEPKT1_PKT2_PKT3_PT4_21rocsparse_index_base_b.has_recursion, 0
	.set _ZN9rocsparseL23coomvn_aos_atomic_loopsILj256ELj1Eid21rocsparse_complex_numIdES2_S2_EEvlNS_24const_host_device_scalarIT5_EEPKT1_PKT2_PKT3_PT4_21rocsparse_index_base_b.has_indirect_call, 0
	.section	.AMDGPU.csdata,"",@progbits
; Kernel info:
; codeLenInByte = 1620
; TotalNumSgprs: 16
; NumVgprs: 18
; ScratchSize: 0
; MemoryBound: 0
; FloatMode: 240
; IeeeMode: 1
; LDSByteSize: 5120 bytes/workgroup (compile time only)
; SGPRBlocks: 1
; VGPRBlocks: 4
; NumSGPRsForWavesPerEU: 16
; NumVGPRsForWavesPerEU: 18
; Occupancy: 10
; WaveLimiterHint : 1
; COMPUTE_PGM_RSRC2:SCRATCH_EN: 0
; COMPUTE_PGM_RSRC2:USER_SGPR: 6
; COMPUTE_PGM_RSRC2:TRAP_HANDLER: 0
; COMPUTE_PGM_RSRC2:TGID_X_EN: 1
; COMPUTE_PGM_RSRC2:TGID_Y_EN: 0
; COMPUTE_PGM_RSRC2:TGID_Z_EN: 0
; COMPUTE_PGM_RSRC2:TIDIG_COMP_CNT: 0
	.section	.text._ZN9rocsparseL17coomvt_aos_kernelILj1024Eid21rocsparse_complex_numIdES2_S2_EEv20rocsparse_operation_lNS_24const_host_device_scalarIT4_EEPKT0_PKT1_PKT2_PT3_21rocsparse_index_base_b,"axG",@progbits,_ZN9rocsparseL17coomvt_aos_kernelILj1024Eid21rocsparse_complex_numIdES2_S2_EEv20rocsparse_operation_lNS_24const_host_device_scalarIT4_EEPKT0_PKT1_PKT2_PT3_21rocsparse_index_base_b,comdat
	.globl	_ZN9rocsparseL17coomvt_aos_kernelILj1024Eid21rocsparse_complex_numIdES2_S2_EEv20rocsparse_operation_lNS_24const_host_device_scalarIT4_EEPKT0_PKT1_PKT2_PT3_21rocsparse_index_base_b ; -- Begin function _ZN9rocsparseL17coomvt_aos_kernelILj1024Eid21rocsparse_complex_numIdES2_S2_EEv20rocsparse_operation_lNS_24const_host_device_scalarIT4_EEPKT0_PKT1_PKT2_PT3_21rocsparse_index_base_b
	.p2align	8
	.type	_ZN9rocsparseL17coomvt_aos_kernelILj1024Eid21rocsparse_complex_numIdES2_S2_EEv20rocsparse_operation_lNS_24const_host_device_scalarIT4_EEPKT0_PKT1_PKT2_PT3_21rocsparse_index_base_b,@function
_ZN9rocsparseL17coomvt_aos_kernelILj1024Eid21rocsparse_complex_numIdES2_S2_EEv20rocsparse_operation_lNS_24const_host_device_scalarIT4_EEPKT0_PKT1_PKT2_PT3_21rocsparse_index_base_b: ; @_ZN9rocsparseL17coomvt_aos_kernelILj1024Eid21rocsparse_complex_numIdES2_S2_EEv20rocsparse_operation_lNS_24const_host_device_scalarIT4_EEPKT0_PKT1_PKT2_PT3_21rocsparse_index_base_b
; %bb.0:
	s_load_dwordx2 s[2:3], s[4:5], 0x40
	s_load_dwordx4 s[8:11], s[4:5], 0x8
	s_add_u32 s0, s4, 16
	s_addc_u32 s1, s5, 0
	s_waitcnt lgkmcnt(0)
	s_bitcmp1_b32 s3, 0
	s_cselect_b32 s1, s1, s11
	s_cselect_b32 s0, s0, s10
	v_mov_b32_e32 v1, s0
	v_mov_b32_e32 v2, s1
	flat_load_dwordx4 v[1:4], v[1:2]
	s_waitcnt vmcnt(0) lgkmcnt(0)
	v_cmp_neq_f64_e32 vcc, 0, v[1:2]
	v_cmp_neq_f64_e64 s[0:1], 0, v[3:4]
	s_or_b64 s[0:1], vcc, s[0:1]
	s_and_saveexec_b64 s[10:11], s[0:1]
	s_cbranch_execz .LBB65_6
; %bb.1:
	s_load_dword s0, s[4:5], 0x54
	v_mov_b32_e32 v6, 0
	s_waitcnt lgkmcnt(0)
	s_and_b32 s0, s0, 0xffff
	s_mul_i32 s6, s6, s0
	v_add_u32_e32 v5, s6, v0
	v_cmp_gt_i64_e32 vcc, s[8:9], v[5:6]
	s_and_b64 exec, exec, vcc
	s_cbranch_execz .LBB65_6
; %bb.2:
	s_load_dwordx8 s[8:15], s[4:5], 0x20
	v_lshlrev_b64 v[5:6], 3, v[5:6]
	s_mov_b32 s0, 0
	s_brev_b32 s1, 1
	v_mul_f64 v[19:20], v[3:4], s[0:1]
	s_waitcnt lgkmcnt(0)
	v_mov_b32_e32 v0, s9
	v_add_co_u32_e32 v7, vcc, s8, v5
	v_addc_co_u32_e32 v8, vcc, v0, v6, vcc
	global_load_dwordx2 v[8:9], v[7:8], off
	v_mov_b32_e32 v0, s11
	v_add_co_u32_e32 v5, vcc, s10, v5
	v_addc_co_u32_e32 v6, vcc, v0, v6, vcc
	global_load_dwordx2 v[17:18], v[5:6], off
	v_mov_b32_e32 v7, s13
	v_mov_b32_e32 v0, s15
	s_mov_b64 s[0:1], 0
	s_waitcnt vmcnt(1)
	v_subrev_u32_e32 v5, s2, v8
	v_ashrrev_i32_e32 v6, 31, v5
	v_lshlrev_b64 v[5:6], 4, v[5:6]
	v_subrev_u32_e32 v9, s2, v9
	v_add_co_u32_e32 v5, vcc, s12, v5
	v_addc_co_u32_e32 v6, vcc, v7, v6, vcc
	global_load_dwordx4 v[5:8], v[5:6], off
	v_ashrrev_i32_e32 v10, 31, v9
	v_lshlrev_b64 v[9:10], 4, v[9:10]
	v_add_co_u32_e32 v13, vcc, s14, v9
	v_addc_co_u32_e32 v14, vcc, v0, v10, vcc
	global_load_dwordx2 v[11:12], v[13:14], off
	v_mul_f64 v[9:10], v[1:2], 0
	s_waitcnt vmcnt(2)
	v_fma_f64 v[0:1], v[1:2], v[17:18], v[19:20]
	v_fma_f64 v[15:16], v[3:4], v[17:18], v[9:10]
	s_waitcnt vmcnt(1)
	v_mul_f64 v[2:3], v[7:8], -v[15:16]
	v_fma_f64 v[2:3], v[0:1], v[5:6], v[2:3]
.LBB65_3:                               ; =>This Inner Loop Header: Depth=1
	s_waitcnt vmcnt(0)
	v_add_f64 v[9:10], v[11:12], v[2:3]
	global_atomic_cmpswap_x2 v[9:10], v[13:14], v[9:12], off glc
	s_waitcnt vmcnt(0)
	v_cmp_eq_u64_e32 vcc, v[9:10], v[11:12]
	v_mov_b32_e32 v12, v10
	s_or_b64 s[0:1], vcc, s[0:1]
	v_mov_b32_e32 v11, v9
	s_andn2_b64 exec, exec, s[0:1]
	s_cbranch_execnz .LBB65_3
; %bb.4:
	s_or_b64 exec, exec, s[0:1]
	global_load_dwordx2 v[2:3], v[13:14], off offset:8
	v_mul_f64 v[0:1], v[0:1], v[7:8]
	s_mov_b64 s[0:1], 0
	v_fma_f64 v[4:5], v[15:16], v[5:6], v[0:1]
.LBB65_5:                               ; =>This Inner Loop Header: Depth=1
	s_waitcnt vmcnt(0)
	v_add_f64 v[0:1], v[2:3], v[4:5]
	global_atomic_cmpswap_x2 v[0:1], v[13:14], v[0:3], off offset:8 glc
	s_waitcnt vmcnt(0)
	v_cmp_eq_u64_e32 vcc, v[0:1], v[2:3]
	v_mov_b32_e32 v3, v1
	s_or_b64 s[0:1], vcc, s[0:1]
	v_mov_b32_e32 v2, v0
	s_andn2_b64 exec, exec, s[0:1]
	s_cbranch_execnz .LBB65_5
.LBB65_6:
	s_endpgm
	.section	.rodata,"a",@progbits
	.p2align	6, 0x0
	.amdhsa_kernel _ZN9rocsparseL17coomvt_aos_kernelILj1024Eid21rocsparse_complex_numIdES2_S2_EEv20rocsparse_operation_lNS_24const_host_device_scalarIT4_EEPKT0_PKT1_PKT2_PT3_21rocsparse_index_base_b
		.amdhsa_group_segment_fixed_size 0
		.amdhsa_private_segment_fixed_size 0
		.amdhsa_kernarg_size 328
		.amdhsa_user_sgpr_count 6
		.amdhsa_user_sgpr_private_segment_buffer 1
		.amdhsa_user_sgpr_dispatch_ptr 0
		.amdhsa_user_sgpr_queue_ptr 0
		.amdhsa_user_sgpr_kernarg_segment_ptr 1
		.amdhsa_user_sgpr_dispatch_id 0
		.amdhsa_user_sgpr_flat_scratch_init 0
		.amdhsa_user_sgpr_private_segment_size 0
		.amdhsa_uses_dynamic_stack 0
		.amdhsa_system_sgpr_private_segment_wavefront_offset 0
		.amdhsa_system_sgpr_workgroup_id_x 1
		.amdhsa_system_sgpr_workgroup_id_y 0
		.amdhsa_system_sgpr_workgroup_id_z 0
		.amdhsa_system_sgpr_workgroup_info 0
		.amdhsa_system_vgpr_workitem_id 0
		.amdhsa_next_free_vgpr 21
		.amdhsa_next_free_sgpr 16
		.amdhsa_reserve_vcc 1
		.amdhsa_reserve_flat_scratch 0
		.amdhsa_float_round_mode_32 0
		.amdhsa_float_round_mode_16_64 0
		.amdhsa_float_denorm_mode_32 3
		.amdhsa_float_denorm_mode_16_64 3
		.amdhsa_dx10_clamp 1
		.amdhsa_ieee_mode 1
		.amdhsa_fp16_overflow 0
		.amdhsa_exception_fp_ieee_invalid_op 0
		.amdhsa_exception_fp_denorm_src 0
		.amdhsa_exception_fp_ieee_div_zero 0
		.amdhsa_exception_fp_ieee_overflow 0
		.amdhsa_exception_fp_ieee_underflow 0
		.amdhsa_exception_fp_ieee_inexact 0
		.amdhsa_exception_int_div_zero 0
	.end_amdhsa_kernel
	.section	.text._ZN9rocsparseL17coomvt_aos_kernelILj1024Eid21rocsparse_complex_numIdES2_S2_EEv20rocsparse_operation_lNS_24const_host_device_scalarIT4_EEPKT0_PKT1_PKT2_PT3_21rocsparse_index_base_b,"axG",@progbits,_ZN9rocsparseL17coomvt_aos_kernelILj1024Eid21rocsparse_complex_numIdES2_S2_EEv20rocsparse_operation_lNS_24const_host_device_scalarIT4_EEPKT0_PKT1_PKT2_PT3_21rocsparse_index_base_b,comdat
.Lfunc_end65:
	.size	_ZN9rocsparseL17coomvt_aos_kernelILj1024Eid21rocsparse_complex_numIdES2_S2_EEv20rocsparse_operation_lNS_24const_host_device_scalarIT4_EEPKT0_PKT1_PKT2_PT3_21rocsparse_index_base_b, .Lfunc_end65-_ZN9rocsparseL17coomvt_aos_kernelILj1024Eid21rocsparse_complex_numIdES2_S2_EEv20rocsparse_operation_lNS_24const_host_device_scalarIT4_EEPKT0_PKT1_PKT2_PT3_21rocsparse_index_base_b
                                        ; -- End function
	.set _ZN9rocsparseL17coomvt_aos_kernelILj1024Eid21rocsparse_complex_numIdES2_S2_EEv20rocsparse_operation_lNS_24const_host_device_scalarIT4_EEPKT0_PKT1_PKT2_PT3_21rocsparse_index_base_b.num_vgpr, 21
	.set _ZN9rocsparseL17coomvt_aos_kernelILj1024Eid21rocsparse_complex_numIdES2_S2_EEv20rocsparse_operation_lNS_24const_host_device_scalarIT4_EEPKT0_PKT1_PKT2_PT3_21rocsparse_index_base_b.num_agpr, 0
	.set _ZN9rocsparseL17coomvt_aos_kernelILj1024Eid21rocsparse_complex_numIdES2_S2_EEv20rocsparse_operation_lNS_24const_host_device_scalarIT4_EEPKT0_PKT1_PKT2_PT3_21rocsparse_index_base_b.numbered_sgpr, 16
	.set _ZN9rocsparseL17coomvt_aos_kernelILj1024Eid21rocsparse_complex_numIdES2_S2_EEv20rocsparse_operation_lNS_24const_host_device_scalarIT4_EEPKT0_PKT1_PKT2_PT3_21rocsparse_index_base_b.num_named_barrier, 0
	.set _ZN9rocsparseL17coomvt_aos_kernelILj1024Eid21rocsparse_complex_numIdES2_S2_EEv20rocsparse_operation_lNS_24const_host_device_scalarIT4_EEPKT0_PKT1_PKT2_PT3_21rocsparse_index_base_b.private_seg_size, 0
	.set _ZN9rocsparseL17coomvt_aos_kernelILj1024Eid21rocsparse_complex_numIdES2_S2_EEv20rocsparse_operation_lNS_24const_host_device_scalarIT4_EEPKT0_PKT1_PKT2_PT3_21rocsparse_index_base_b.uses_vcc, 1
	.set _ZN9rocsparseL17coomvt_aos_kernelILj1024Eid21rocsparse_complex_numIdES2_S2_EEv20rocsparse_operation_lNS_24const_host_device_scalarIT4_EEPKT0_PKT1_PKT2_PT3_21rocsparse_index_base_b.uses_flat_scratch, 0
	.set _ZN9rocsparseL17coomvt_aos_kernelILj1024Eid21rocsparse_complex_numIdES2_S2_EEv20rocsparse_operation_lNS_24const_host_device_scalarIT4_EEPKT0_PKT1_PKT2_PT3_21rocsparse_index_base_b.has_dyn_sized_stack, 0
	.set _ZN9rocsparseL17coomvt_aos_kernelILj1024Eid21rocsparse_complex_numIdES2_S2_EEv20rocsparse_operation_lNS_24const_host_device_scalarIT4_EEPKT0_PKT1_PKT2_PT3_21rocsparse_index_base_b.has_recursion, 0
	.set _ZN9rocsparseL17coomvt_aos_kernelILj1024Eid21rocsparse_complex_numIdES2_S2_EEv20rocsparse_operation_lNS_24const_host_device_scalarIT4_EEPKT0_PKT1_PKT2_PT3_21rocsparse_index_base_b.has_indirect_call, 0
	.section	.AMDGPU.csdata,"",@progbits
; Kernel info:
; codeLenInByte = 464
; TotalNumSgprs: 20
; NumVgprs: 21
; ScratchSize: 0
; MemoryBound: 0
; FloatMode: 240
; IeeeMode: 1
; LDSByteSize: 0 bytes/workgroup (compile time only)
; SGPRBlocks: 2
; VGPRBlocks: 5
; NumSGPRsForWavesPerEU: 20
; NumVGPRsForWavesPerEU: 21
; Occupancy: 10
; WaveLimiterHint : 1
; COMPUTE_PGM_RSRC2:SCRATCH_EN: 0
; COMPUTE_PGM_RSRC2:USER_SGPR: 6
; COMPUTE_PGM_RSRC2:TRAP_HANDLER: 0
; COMPUTE_PGM_RSRC2:TGID_X_EN: 1
; COMPUTE_PGM_RSRC2:TGID_Y_EN: 0
; COMPUTE_PGM_RSRC2:TGID_Z_EN: 0
; COMPUTE_PGM_RSRC2:TIDIG_COMP_CNT: 0
	.section	.text._ZN9rocsparseL26coomvn_aos_segmented_loopsILj256Eid21rocsparse_complex_numIdES2_S2_EEvlT0_NS_24const_host_device_scalarIT4_EEPKS3_PKT1_PKT2_PT3_PS3_PS5_21rocsparse_index_base_b,"axG",@progbits,_ZN9rocsparseL26coomvn_aos_segmented_loopsILj256Eid21rocsparse_complex_numIdES2_S2_EEvlT0_NS_24const_host_device_scalarIT4_EEPKS3_PKT1_PKT2_PT3_PS3_PS5_21rocsparse_index_base_b,comdat
	.globl	_ZN9rocsparseL26coomvn_aos_segmented_loopsILj256Eid21rocsparse_complex_numIdES2_S2_EEvlT0_NS_24const_host_device_scalarIT4_EEPKS3_PKT1_PKT2_PT3_PS3_PS5_21rocsparse_index_base_b ; -- Begin function _ZN9rocsparseL26coomvn_aos_segmented_loopsILj256Eid21rocsparse_complex_numIdES2_S2_EEvlT0_NS_24const_host_device_scalarIT4_EEPKS3_PKT1_PKT2_PT3_PS3_PS5_21rocsparse_index_base_b
	.p2align	8
	.type	_ZN9rocsparseL26coomvn_aos_segmented_loopsILj256Eid21rocsparse_complex_numIdES2_S2_EEvlT0_NS_24const_host_device_scalarIT4_EEPKS3_PKT1_PKT2_PT3_PS3_PS5_21rocsparse_index_base_b,@function
_ZN9rocsparseL26coomvn_aos_segmented_loopsILj256Eid21rocsparse_complex_numIdES2_S2_EEvlT0_NS_24const_host_device_scalarIT4_EEPKS3_PKT1_PKT2_PT3_PS3_PS5_21rocsparse_index_base_b: ; @_ZN9rocsparseL26coomvn_aos_segmented_loopsILj256Eid21rocsparse_complex_numIdES2_S2_EEvlT0_NS_24const_host_device_scalarIT4_EEPKS3_PKT1_PKT2_PT3_PS3_PS5_21rocsparse_index_base_b
; %bb.0:
	s_load_dwordx2 s[34:35], s[4:5], 0x50
	s_load_dwordx2 s[0:1], s[4:5], 0x10
	s_add_u32 s2, s4, 16
	s_addc_u32 s3, s5, 0
	s_waitcnt lgkmcnt(0)
	s_bitcmp1_b32 s35, 0
	s_cselect_b32 s1, s3, s1
	s_cselect_b32 s0, s2, s0
	v_mov_b32_e32 v1, s0
	v_mov_b32_e32 v2, s1
	flat_load_dwordx4 v[1:4], v[1:2]
	s_waitcnt vmcnt(0) lgkmcnt(0)
	v_cmp_neq_f64_e32 vcc, 0, v[1:2]
	v_cmp_neq_f64_e64 s[0:1], 0, v[3:4]
	s_or_b64 s[0:1], vcc, s[0:1]
	s_and_saveexec_b64 s[2:3], s[0:1]
	s_cbranch_execz .LBB66_87
; %bb.1:
	s_load_dword s42, s[4:5], 0x8
	s_load_dwordx2 s[36:37], s[4:5], 0x0
	s_load_dwordx4 s[28:31], s[4:5], 0x20
	s_load_dwordx2 s[40:41], s[4:5], 0x30
	v_mov_b32_e32 v5, 0
	s_waitcnt lgkmcnt(0)
	s_mul_i32 s0, s6, s42
	v_mov_b32_e32 v16, 0
	v_lshl_or_b32 v15, s0, 8, v0
	v_mov_b32_e32 v6, 0
	v_cmp_gt_i64_e32 vcc, s[36:37], v[15:16]
	v_lshlrev_b64 v[11:12], 3, v[15:16]
	v_mov_b32_e32 v8, v6
	v_mov_b32_e32 v9, -1
	v_mov_b32_e32 v7, v5
	s_and_saveexec_b64 s[0:1], vcc
	s_cbranch_execz .LBB66_3
; %bb.2:
	v_mov_b32_e32 v6, s29
	v_add_co_u32_e32 v5, vcc, s28, v11
	v_addc_co_u32_e32 v6, vcc, v6, v12, vcc
	global_load_dwordx2 v[13:14], v[5:6], off glc slc
	v_mov_b32_e32 v6, s31
	v_add_co_u32_e32 v5, vcc, s30, v11
	v_addc_co_u32_e32 v6, vcc, v6, v12, vcc
	v_mov_b32_e32 v9, s41
	s_ashr_i32 s35, s34, 31
	s_lshl_b64 s[2:3], s[34:35], 4
	v_mov_b32_e32 v10, s3
	s_waitcnt vmcnt(0)
	v_ashrrev_i32_e32 v8, 31, v14
	v_mov_b32_e32 v7, v14
	v_lshlrev_b64 v[7:8], 4, v[7:8]
	v_add_co_u32_e32 v7, vcc, s40, v7
	v_addc_co_u32_e32 v8, vcc, v9, v8, vcc
	v_subrev_co_u32_e32 v16, vcc, s2, v7
	v_subb_co_u32_e32 v17, vcc, v8, v10, vcc
	global_load_dwordx4 v[7:10], v[16:17], off
	global_load_dwordx2 v[18:19], v[5:6], off glc slc
	s_mov_b32 s2, 0
	s_brev_b32 s3, 1
	s_waitcnt vmcnt(1)
	v_mul_f64 v[5:6], v[9:10], s[2:3]
	s_waitcnt vmcnt(0)
	v_mul_f64 v[9:10], v[18:19], v[9:10]
	v_fma_f64 v[5:6], v[18:19], v[7:8], v[5:6]
	v_fma_f64 v[7:8], v[7:8], 0, v[9:10]
	v_subrev_u32_e32 v9, s34, v13
.LBB66_3:
	s_or_b64 exec, exec, s[0:1]
	v_lshlrev_b32_e32 v10, 2, v0
	v_or_b32_e32 v17, 0x1000, v10
	v_lshlrev_b32_e32 v18, 4, v0
	v_cmp_eq_u32_e64 s[0:1], 0, v0
	v_cmp_ne_u32_e64 s[2:3], 0, v0
	v_add_u32_e32 v19, -4, v17
	ds_write_b32 v10, v9 offset:4096
	ds_write_b128 v18, v[5:8]
	s_waitcnt lgkmcnt(0)
	s_barrier
	s_and_saveexec_b64 s[8:9], s[2:3]
	s_cbranch_execz .LBB66_7
; %bb.4:
	ds_read_b32 v10, v19
	s_waitcnt lgkmcnt(0)
	v_cmp_eq_u32_e32 vcc, v9, v10
	s_and_saveexec_b64 s[10:11], vcc
	s_cbranch_execz .LBB66_6
; %bb.5:
	v_add_u32_e32 v10, -16, v18
	ds_read_b128 v[20:23], v10
	s_waitcnt lgkmcnt(0)
	v_add_f64 v[5:6], v[5:6], v[20:21]
	v_add_f64 v[7:8], v[7:8], v[22:23]
.LBB66_6:
	s_or_b64 exec, exec, s[10:11]
.LBB66_7:
	s_or_b64 exec, exec, s[8:9]
	v_cmp_lt_u32_e64 s[22:23], 1, v0
	v_add_u32_e32 v20, -8, v17
	s_barrier
	ds_write_b128 v18, v[5:8]
	s_waitcnt lgkmcnt(0)
	s_barrier
	s_and_saveexec_b64 s[8:9], s[22:23]
	s_cbranch_execz .LBB66_11
; %bb.8:
	ds_read_b32 v10, v20
	s_waitcnt lgkmcnt(0)
	v_cmp_eq_u32_e32 vcc, v9, v10
	s_and_saveexec_b64 s[10:11], vcc
	s_cbranch_execz .LBB66_10
; %bb.9:
	v_subrev_u32_e32 v10, 32, v18
	ds_read_b128 v[21:24], v10
	s_waitcnt lgkmcnt(0)
	v_add_f64 v[5:6], v[5:6], v[21:22]
	v_add_f64 v[7:8], v[7:8], v[23:24]
.LBB66_10:
	s_or_b64 exec, exec, s[10:11]
.LBB66_11:
	s_or_b64 exec, exec, s[8:9]
	v_cmp_lt_u32_e64 s[8:9], 3, v0
	v_add_u32_e32 v21, -16, v17
	s_barrier
	ds_write_b128 v18, v[5:8]
	s_waitcnt lgkmcnt(0)
	s_barrier
	s_and_saveexec_b64 s[10:11], s[8:9]
	s_cbranch_execz .LBB66_15
; %bb.12:
	ds_read_b32 v10, v21
	s_waitcnt lgkmcnt(0)
	v_cmp_eq_u32_e32 vcc, v9, v10
	s_and_saveexec_b64 s[12:13], vcc
	s_cbranch_execz .LBB66_14
; %bb.13:
	v_subrev_u32_e32 v10, 64, v18
	ds_read_b128 v[22:25], v10
	s_waitcnt lgkmcnt(0)
	v_add_f64 v[5:6], v[5:6], v[22:23]
	v_add_f64 v[7:8], v[7:8], v[24:25]
.LBB66_14:
	s_or_b64 exec, exec, s[12:13]
.LBB66_15:
	s_or_b64 exec, exec, s[10:11]
	v_cmp_lt_u32_e64 s[10:11], 7, v0
	v_subrev_u32_e32 v22, 32, v17
	s_barrier
	ds_write_b128 v18, v[5:8]
	s_waitcnt lgkmcnt(0)
	s_barrier
	s_and_saveexec_b64 s[12:13], s[10:11]
	s_cbranch_execz .LBB66_19
; %bb.16:
	ds_read_b32 v10, v22
	s_waitcnt lgkmcnt(0)
	v_cmp_eq_u32_e32 vcc, v9, v10
	s_and_saveexec_b64 s[14:15], vcc
	s_cbranch_execz .LBB66_18
; %bb.17:
	v_add_u32_e32 v10, 0xffffff80, v18
	ds_read_b128 v[23:26], v10
	s_waitcnt lgkmcnt(0)
	v_add_f64 v[5:6], v[5:6], v[23:24]
	v_add_f64 v[7:8], v[7:8], v[25:26]
.LBB66_18:
	s_or_b64 exec, exec, s[14:15]
.LBB66_19:
	s_or_b64 exec, exec, s[12:13]
	v_cmp_lt_u32_e64 s[12:13], 15, v0
	v_subrev_u32_e32 v23, 64, v17
	s_barrier
	ds_write_b128 v18, v[5:8]
	s_waitcnt lgkmcnt(0)
	s_barrier
	s_and_saveexec_b64 s[14:15], s[12:13]
	s_cbranch_execz .LBB66_23
; %bb.20:
	ds_read_b32 v10, v23
	s_waitcnt lgkmcnt(0)
	v_cmp_eq_u32_e32 vcc, v9, v10
	s_and_saveexec_b64 s[16:17], vcc
	s_cbranch_execz .LBB66_22
; %bb.21:
	v_add_u32_e32 v10, 0xffffff00, v18
	ds_read_b128 v[24:27], v10
	s_waitcnt lgkmcnt(0)
	v_add_f64 v[5:6], v[5:6], v[24:25]
	v_add_f64 v[7:8], v[7:8], v[26:27]
.LBB66_22:
	s_or_b64 exec, exec, s[16:17]
.LBB66_23:
	s_or_b64 exec, exec, s[14:15]
	v_cmp_lt_u32_e64 s[14:15], 31, v0
	s_barrier
	ds_write_b128 v18, v[5:8]
	s_waitcnt lgkmcnt(0)
	s_barrier
	s_and_saveexec_b64 s[16:17], s[14:15]
	s_cbranch_execz .LBB66_27
; %bb.24:
	v_add_u32_e32 v10, 0xffffff80, v17
	ds_read_b32 v10, v10
	s_waitcnt lgkmcnt(0)
	v_cmp_eq_u32_e32 vcc, v9, v10
	s_and_saveexec_b64 s[18:19], vcc
	s_cbranch_execz .LBB66_26
; %bb.25:
	v_add_u32_e32 v10, 0xfffffe00, v18
	ds_read_b128 v[24:27], v10
	s_waitcnt lgkmcnt(0)
	v_add_f64 v[5:6], v[5:6], v[24:25]
	v_add_f64 v[7:8], v[7:8], v[26:27]
.LBB66_26:
	s_or_b64 exec, exec, s[18:19]
.LBB66_27:
	s_or_b64 exec, exec, s[16:17]
	v_cmp_lt_u32_e64 s[16:17], 63, v0
	s_barrier
	ds_write_b128 v18, v[5:8]
	s_waitcnt lgkmcnt(0)
	s_barrier
	s_and_saveexec_b64 s[18:19], s[16:17]
	s_cbranch_execz .LBB66_31
; %bb.28:
	v_add_u32_e32 v10, 0xffffff00, v17
	ds_read_b32 v10, v10
	s_waitcnt lgkmcnt(0)
	v_cmp_eq_u32_e32 vcc, v9, v10
	s_and_saveexec_b64 s[20:21], vcc
	s_cbranch_execz .LBB66_30
; %bb.29:
	v_add_u32_e32 v10, 0xfffffc00, v18
	ds_read_b128 v[24:27], v10
	s_waitcnt lgkmcnt(0)
	v_add_f64 v[5:6], v[5:6], v[24:25]
	v_add_f64 v[7:8], v[7:8], v[26:27]
.LBB66_30:
	s_or_b64 exec, exec, s[20:21]
.LBB66_31:
	s_or_b64 exec, exec, s[18:19]
	s_load_dwordx2 s[38:39], s[4:5], 0x38
	s_movk_i32 s7, 0x7f
	v_cmp_lt_u32_e64 s[18:19], s7, v0
	s_waitcnt lgkmcnt(0)
	s_barrier
	ds_write_b128 v18, v[5:8]
	s_waitcnt lgkmcnt(0)
	s_barrier
	s_and_saveexec_b64 s[20:21], s[18:19]
	s_cbranch_execz .LBB66_35
; %bb.32:
	v_add_u32_e32 v10, 0xfffffe00, v17
	ds_read_b32 v10, v10
	s_waitcnt lgkmcnt(0)
	v_cmp_eq_u32_e32 vcc, v9, v10
	s_and_saveexec_b64 s[24:25], vcc
	s_cbranch_execz .LBB66_34
; %bb.33:
	v_add_u32_e32 v10, 0xfffff800, v18
	ds_read_b128 v[24:27], v10
	s_waitcnt lgkmcnt(0)
	v_add_f64 v[5:6], v[5:6], v[24:25]
	v_add_f64 v[7:8], v[7:8], v[26:27]
.LBB66_34:
	s_or_b64 exec, exec, s[24:25]
.LBB66_35:
	s_or_b64 exec, exec, s[20:21]
	s_movk_i32 s7, 0xff
	v_cmp_gt_u32_e64 s[20:21], s7, v0
	s_barrier
	ds_write_b128 v18, v[5:8]
	s_waitcnt lgkmcnt(0)
	s_barrier
	s_and_saveexec_b64 s[26:27], s[20:21]
	s_cbranch_execz .LBB66_38
; %bb.36:
	ds_read_b32 v10, v17 offset:4
	v_cmp_lt_i32_e64 s[24:25], -1, v9
	s_waitcnt lgkmcnt(0)
	v_cmp_ne_u32_e32 vcc, v9, v10
	s_and_b64 s[24:25], s[24:25], vcc
	s_and_b64 exec, exec, s[24:25]
	s_cbranch_execz .LBB66_38
; %bb.37:
	v_mov_b32_e32 v10, 0
	v_lshlrev_b64 v[13:14], 4, v[9:10]
	v_mov_b32_e32 v10, s39
	v_add_co_u32_e32 v13, vcc, s38, v13
	v_addc_co_u32_e32 v14, vcc, v10, v14, vcc
	global_load_dwordx4 v[24:27], v[13:14], off
	s_waitcnt vmcnt(0)
	v_fma_f64 v[24:25], v[1:2], v[5:6], v[24:25]
	v_fma_f64 v[26:27], v[3:4], v[5:6], v[26:27]
	v_fma_f64 v[24:25], -v[3:4], v[7:8], v[24:25]
	v_fma_f64 v[26:27], v[1:2], v[7:8], v[26:27]
	global_store_dwordx4 v[13:14], v[24:27], off
.LBB66_38:
	s_or_b64 exec, exec, s[26:27]
	s_load_dwordx4 s[24:27], s[4:5], 0x40
	s_cmp_lt_i32 s42, 2
	s_cbranch_scc1 .LBB66_85
; %bb.39:
	s_ashr_i32 s35, s34, 31
	s_lshl_b64 s[4:5], s[34:35], 4
	s_sub_u32 s7, s40, s4
	s_movk_i32 s4, 0x800
	v_add_co_u32_e32 v5, vcc, s4, v11
	v_addc_co_u32_e32 v6, vcc, 0, v12, vcc
	v_mov_b32_e32 v7, s31
	v_add_co_u32_e32 v11, vcc, s30, v5
	v_addc_co_u32_e32 v12, vcc, v7, v6, vcc
	v_mov_b32_e32 v7, s29
	v_add_co_u32_e32 v13, vcc, s28, v5
	v_addc_co_u32_e32 v14, vcc, v7, v6, vcc
	s_movk_i32 s4, 0x100
	v_add_co_u32_e32 v15, vcc, s4, v15
	s_mov_b32 s28, 0
	s_subb_u32 s33, s41, s5
	v_add_u32_e32 v24, 0xffffff80, v17
	v_add_u32_e32 v25, 0xfffffe00, v18
	;; [unrolled: 1-line block ×6, first 2 shown]
	v_addc_co_u32_e64 v16, s[4:5], 0, 0, vcc
	s_add_i32 s35, s42, -1
	s_brev_b32 s29, 1
	v_mov_b32_e32 v10, 0
	s_mov_b32 s31, 0
	s_branch .LBB66_41
.LBB66_40:                              ;   in Loop: Header=BB66_41 Depth=1
	s_or_b64 exec, exec, s[40:41]
	v_add_co_u32_e32 v11, vcc, 0x800, v11
	v_addc_co_u32_e32 v12, vcc, 0, v12, vcc
	v_add_co_u32_e32 v13, vcc, 0x800, v13
	v_addc_co_u32_e32 v14, vcc, 0, v14, vcc
	v_add_co_u32_e32 v15, vcc, 0x100, v15
	s_add_i32 s35, s35, -1
	s_cmp_eq_u32 s35, 0
	v_addc_co_u32_e32 v16, vcc, 0, v16, vcc
	s_cbranch_scc1 .LBB66_85
.LBB66_41:                              ; =>This Inner Loop Header: Depth=1
	v_cmp_gt_i64_e32 vcc, s[36:37], v[15:16]
	v_mov_b32_e32 v5, 0
	v_mov_b32_e32 v7, 0
	;; [unrolled: 1-line block ×4, first 2 shown]
	v_mov_b32_e32 v9, -1
	s_and_saveexec_b64 s[4:5], vcc
	s_cbranch_execz .LBB66_43
; %bb.42:                               ;   in Loop: Header=BB66_41 Depth=1
	global_load_dwordx2 v[34:35], v[13:14], off glc slc
	v_mov_b32_e32 v7, s33
	s_waitcnt vmcnt(0)
	v_ashrrev_i32_e32 v6, 31, v35
	v_mov_b32_e32 v5, v35
	v_lshlrev_b64 v[5:6], 4, v[5:6]
	v_subrev_u32_e32 v9, s34, v34
	v_add_co_u32_e32 v5, vcc, s7, v5
	v_addc_co_u32_e32 v6, vcc, v7, v6, vcc
	global_load_dwordx4 v[30:33], v[5:6], off
	global_load_dwordx2 v[7:8], v[11:12], off glc slc
	s_waitcnt vmcnt(1)
	v_mul_f64 v[5:6], v[32:33], s[28:29]
	s_waitcnt vmcnt(0)
	v_mul_f64 v[32:33], v[7:8], v[32:33]
	v_fma_f64 v[5:6], v[7:8], v[30:31], v[5:6]
	v_fma_f64 v[7:8], v[30:31], 0, v[32:33]
.LBB66_43:                              ;   in Loop: Header=BB66_41 Depth=1
	s_or_b64 exec, exec, s[4:5]
	s_and_saveexec_b64 s[4:5], s[0:1]
	s_cbranch_execz .LBB66_50
; %bb.44:                               ;   in Loop: Header=BB66_41 Depth=1
	ds_read_b32 v30, v10 offset:5116
	s_waitcnt lgkmcnt(0)
	v_readfirstlane_b32 s30, v30
	v_cmp_ne_u32_e32 vcc, v9, v30
	s_and_saveexec_b64 s[40:41], vcc
	s_xor_b64 s[40:41], exec, s[40:41]
	s_cbranch_execz .LBB66_47
; %bb.45:                               ;   in Loop: Header=BB66_41 Depth=1
	s_cmp_lt_i32 s30, 0
	s_cbranch_scc1 .LBB66_47
; %bb.46:                               ;   in Loop: Header=BB66_41 Depth=1
	s_lshl_b64 s[42:43], s[30:31], 4
	s_add_u32 s42, s38, s42
	s_addc_u32 s43, s39, s43
	global_load_dwordx4 v[30:33], v10, s[42:43]
	ds_read_b128 v[34:37], v10 offset:4080
	s_waitcnt vmcnt(0) lgkmcnt(0)
	v_fma_f64 v[30:31], v[1:2], v[34:35], v[30:31]
	v_fma_f64 v[32:33], v[3:4], v[34:35], v[32:33]
	v_fma_f64 v[30:31], -v[3:4], v[36:37], v[30:31]
	v_fma_f64 v[32:33], v[1:2], v[36:37], v[32:33]
	global_store_dwordx4 v10, v[30:33], s[42:43]
.LBB66_47:                              ;   in Loop: Header=BB66_41 Depth=1
	s_andn2_saveexec_b64 s[40:41], s[40:41]
	s_cbranch_execz .LBB66_49
; %bb.48:                               ;   in Loop: Header=BB66_41 Depth=1
	ds_read_b128 v[30:33], v10 offset:4080
	s_waitcnt lgkmcnt(0)
	v_add_f64 v[5:6], v[5:6], v[30:31]
	v_add_f64 v[7:8], v[7:8], v[32:33]
.LBB66_49:                              ;   in Loop: Header=BB66_41 Depth=1
	s_or_b64 exec, exec, s[40:41]
.LBB66_50:                              ;   in Loop: Header=BB66_41 Depth=1
	s_or_b64 exec, exec, s[4:5]
	s_waitcnt vmcnt(0) lgkmcnt(0)
	s_barrier
	ds_write_b32 v17, v9
	ds_write_b128 v18, v[5:8]
	s_waitcnt lgkmcnt(0)
	s_barrier
	s_and_saveexec_b64 s[4:5], s[2:3]
	s_cbranch_execz .LBB66_54
; %bb.51:                               ;   in Loop: Header=BB66_41 Depth=1
	ds_read_b32 v30, v19
	s_waitcnt lgkmcnt(0)
	v_cmp_eq_u32_e32 vcc, v9, v30
	s_and_saveexec_b64 s[40:41], vcc
	s_cbranch_execz .LBB66_53
; %bb.52:                               ;   in Loop: Header=BB66_41 Depth=1
	v_add_u32_e32 v30, -16, v18
	ds_read_b128 v[30:33], v30
	s_waitcnt lgkmcnt(0)
	v_add_f64 v[5:6], v[5:6], v[30:31]
	v_add_f64 v[7:8], v[7:8], v[32:33]
.LBB66_53:                              ;   in Loop: Header=BB66_41 Depth=1
	s_or_b64 exec, exec, s[40:41]
.LBB66_54:                              ;   in Loop: Header=BB66_41 Depth=1
	s_or_b64 exec, exec, s[4:5]
	s_barrier
	ds_write_b128 v18, v[5:8]
	s_waitcnt lgkmcnt(0)
	s_barrier
	s_and_saveexec_b64 s[4:5], s[22:23]
	s_cbranch_execz .LBB66_58
; %bb.55:                               ;   in Loop: Header=BB66_41 Depth=1
	ds_read_b32 v30, v20
	s_waitcnt lgkmcnt(0)
	v_cmp_eq_u32_e32 vcc, v9, v30
	s_and_saveexec_b64 s[40:41], vcc
	s_cbranch_execz .LBB66_57
; %bb.56:                               ;   in Loop: Header=BB66_41 Depth=1
	v_subrev_u32_e32 v30, 32, v18
	ds_read_b128 v[30:33], v30
	s_waitcnt lgkmcnt(0)
	v_add_f64 v[5:6], v[5:6], v[30:31]
	v_add_f64 v[7:8], v[7:8], v[32:33]
.LBB66_57:                              ;   in Loop: Header=BB66_41 Depth=1
	s_or_b64 exec, exec, s[40:41]
.LBB66_58:                              ;   in Loop: Header=BB66_41 Depth=1
	s_or_b64 exec, exec, s[4:5]
	s_barrier
	ds_write_b128 v18, v[5:8]
	s_waitcnt lgkmcnt(0)
	s_barrier
	s_and_saveexec_b64 s[4:5], s[8:9]
	s_cbranch_execz .LBB66_62
; %bb.59:                               ;   in Loop: Header=BB66_41 Depth=1
	ds_read_b32 v30, v21
	s_waitcnt lgkmcnt(0)
	v_cmp_eq_u32_e32 vcc, v9, v30
	s_and_saveexec_b64 s[40:41], vcc
	s_cbranch_execz .LBB66_61
; %bb.60:                               ;   in Loop: Header=BB66_41 Depth=1
	v_subrev_u32_e32 v30, 64, v18
	ds_read_b128 v[30:33], v30
	s_waitcnt lgkmcnt(0)
	v_add_f64 v[5:6], v[5:6], v[30:31]
	v_add_f64 v[7:8], v[7:8], v[32:33]
.LBB66_61:                              ;   in Loop: Header=BB66_41 Depth=1
	s_or_b64 exec, exec, s[40:41]
.LBB66_62:                              ;   in Loop: Header=BB66_41 Depth=1
	s_or_b64 exec, exec, s[4:5]
	s_barrier
	ds_write_b128 v18, v[5:8]
	s_waitcnt lgkmcnt(0)
	s_barrier
	s_and_saveexec_b64 s[4:5], s[10:11]
	s_cbranch_execz .LBB66_66
; %bb.63:                               ;   in Loop: Header=BB66_41 Depth=1
	ds_read_b32 v30, v22
	s_waitcnt lgkmcnt(0)
	v_cmp_eq_u32_e32 vcc, v9, v30
	s_and_saveexec_b64 s[40:41], vcc
	s_cbranch_execz .LBB66_65
; %bb.64:                               ;   in Loop: Header=BB66_41 Depth=1
	v_add_u32_e32 v30, 0xffffff80, v18
	ds_read_b128 v[30:33], v30
	s_waitcnt lgkmcnt(0)
	v_add_f64 v[5:6], v[5:6], v[30:31]
	v_add_f64 v[7:8], v[7:8], v[32:33]
.LBB66_65:                              ;   in Loop: Header=BB66_41 Depth=1
	s_or_b64 exec, exec, s[40:41]
.LBB66_66:                              ;   in Loop: Header=BB66_41 Depth=1
	s_or_b64 exec, exec, s[4:5]
	s_barrier
	ds_write_b128 v18, v[5:8]
	s_waitcnt lgkmcnt(0)
	s_barrier
	s_and_saveexec_b64 s[4:5], s[12:13]
	s_cbranch_execz .LBB66_70
; %bb.67:                               ;   in Loop: Header=BB66_41 Depth=1
	ds_read_b32 v30, v23
	s_waitcnt lgkmcnt(0)
	v_cmp_eq_u32_e32 vcc, v9, v30
	s_and_saveexec_b64 s[40:41], vcc
	s_cbranch_execz .LBB66_69
; %bb.68:                               ;   in Loop: Header=BB66_41 Depth=1
	v_add_u32_e32 v30, 0xffffff00, v18
	ds_read_b128 v[30:33], v30
	s_waitcnt lgkmcnt(0)
	v_add_f64 v[5:6], v[5:6], v[30:31]
	v_add_f64 v[7:8], v[7:8], v[32:33]
.LBB66_69:                              ;   in Loop: Header=BB66_41 Depth=1
	s_or_b64 exec, exec, s[40:41]
.LBB66_70:                              ;   in Loop: Header=BB66_41 Depth=1
	s_or_b64 exec, exec, s[4:5]
	s_barrier
	ds_write_b128 v18, v[5:8]
	s_waitcnt lgkmcnt(0)
	s_barrier
	s_and_saveexec_b64 s[4:5], s[14:15]
	s_cbranch_execz .LBB66_74
; %bb.71:                               ;   in Loop: Header=BB66_41 Depth=1
	ds_read_b32 v30, v24
	s_waitcnt lgkmcnt(0)
	v_cmp_eq_u32_e32 vcc, v9, v30
	s_and_saveexec_b64 s[40:41], vcc
	s_cbranch_execz .LBB66_73
; %bb.72:                               ;   in Loop: Header=BB66_41 Depth=1
	ds_read_b128 v[30:33], v25
	s_waitcnt lgkmcnt(0)
	v_add_f64 v[5:6], v[5:6], v[30:31]
	v_add_f64 v[7:8], v[7:8], v[32:33]
.LBB66_73:                              ;   in Loop: Header=BB66_41 Depth=1
	s_or_b64 exec, exec, s[40:41]
.LBB66_74:                              ;   in Loop: Header=BB66_41 Depth=1
	s_or_b64 exec, exec, s[4:5]
	s_barrier
	ds_write_b128 v18, v[5:8]
	s_waitcnt lgkmcnt(0)
	s_barrier
	s_and_saveexec_b64 s[4:5], s[16:17]
	s_cbranch_execz .LBB66_78
; %bb.75:                               ;   in Loop: Header=BB66_41 Depth=1
	ds_read_b32 v30, v26
	s_waitcnt lgkmcnt(0)
	v_cmp_eq_u32_e32 vcc, v9, v30
	s_and_saveexec_b64 s[40:41], vcc
	s_cbranch_execz .LBB66_77
; %bb.76:                               ;   in Loop: Header=BB66_41 Depth=1
	ds_read_b128 v[30:33], v27
	s_waitcnt lgkmcnt(0)
	v_add_f64 v[5:6], v[5:6], v[30:31]
	v_add_f64 v[7:8], v[7:8], v[32:33]
.LBB66_77:                              ;   in Loop: Header=BB66_41 Depth=1
	s_or_b64 exec, exec, s[40:41]
.LBB66_78:                              ;   in Loop: Header=BB66_41 Depth=1
	;; [unrolled: 21-line block ×3, first 2 shown]
	s_or_b64 exec, exec, s[4:5]
	s_barrier
	ds_write_b128 v18, v[5:8]
	s_waitcnt lgkmcnt(0)
	s_barrier
	s_and_saveexec_b64 s[40:41], s[20:21]
	s_cbranch_execz .LBB66_40
; %bb.83:                               ;   in Loop: Header=BB66_41 Depth=1
	ds_read_b32 v30, v17 offset:4
	v_cmp_lt_i32_e64 s[4:5], -1, v9
	s_waitcnt lgkmcnt(0)
	v_cmp_ne_u32_e32 vcc, v9, v30
	s_and_b64 s[4:5], s[4:5], vcc
	s_and_b64 exec, exec, s[4:5]
	s_cbranch_execz .LBB66_40
; %bb.84:                               ;   in Loop: Header=BB66_41 Depth=1
	v_lshlrev_b64 v[30:31], 4, v[9:10]
	v_mov_b32_e32 v32, s39
	v_add_co_u32_e32 v34, vcc, s38, v30
	v_addc_co_u32_e32 v35, vcc, v32, v31, vcc
	global_load_dwordx4 v[30:33], v[34:35], off
	s_waitcnt vmcnt(0)
	v_fma_f64 v[30:31], v[1:2], v[5:6], v[30:31]
	v_fma_f64 v[32:33], v[3:4], v[5:6], v[32:33]
	v_fma_f64 v[30:31], -v[3:4], v[7:8], v[30:31]
	v_fma_f64 v[32:33], v[1:2], v[7:8], v[32:33]
	global_store_dwordx4 v[34:35], v[30:33], off
	s_branch .LBB66_40
.LBB66_85:
	s_movk_i32 s0, 0xff
	v_cmp_eq_u32_e32 vcc, s0, v0
	s_and_b64 exec, exec, vcc
	s_cbranch_execz .LBB66_87
; %bb.86:
	v_mul_f64 v[10:11], v[7:8], -v[3:4]
	v_mul_f64 v[7:8], v[1:2], v[7:8]
	s_mov_b32 s7, 0
	s_lshl_b64 s[0:1], s[6:7], 2
	s_waitcnt lgkmcnt(0)
	s_add_u32 s0, s24, s0
	s_addc_u32 s1, s25, s1
	v_fma_f64 v[0:1], v[1:2], v[5:6], v[10:11]
	v_fma_f64 v[2:3], v[3:4], v[5:6], v[7:8]
	v_mov_b32_e32 v4, 0
	global_store_dword v4, v9, s[0:1] glc slc
	s_lshl_b64 s[0:1], s[6:7], 4
	s_add_u32 s0, s26, s0
	s_addc_u32 s1, s27, s1
	global_store_dwordx4 v4, v[0:3], s[0:1] glc slc
.LBB66_87:
	s_endpgm
	.section	.rodata,"a",@progbits
	.p2align	6, 0x0
	.amdhsa_kernel _ZN9rocsparseL26coomvn_aos_segmented_loopsILj256Eid21rocsparse_complex_numIdES2_S2_EEvlT0_NS_24const_host_device_scalarIT4_EEPKS3_PKT1_PKT2_PT3_PS3_PS5_21rocsparse_index_base_b
		.amdhsa_group_segment_fixed_size 5120
		.amdhsa_private_segment_fixed_size 0
		.amdhsa_kernarg_size 88
		.amdhsa_user_sgpr_count 6
		.amdhsa_user_sgpr_private_segment_buffer 1
		.amdhsa_user_sgpr_dispatch_ptr 0
		.amdhsa_user_sgpr_queue_ptr 0
		.amdhsa_user_sgpr_kernarg_segment_ptr 1
		.amdhsa_user_sgpr_dispatch_id 0
		.amdhsa_user_sgpr_flat_scratch_init 0
		.amdhsa_user_sgpr_private_segment_size 0
		.amdhsa_uses_dynamic_stack 0
		.amdhsa_system_sgpr_private_segment_wavefront_offset 0
		.amdhsa_system_sgpr_workgroup_id_x 1
		.amdhsa_system_sgpr_workgroup_id_y 0
		.amdhsa_system_sgpr_workgroup_id_z 0
		.amdhsa_system_sgpr_workgroup_info 0
		.amdhsa_system_vgpr_workitem_id 0
		.amdhsa_next_free_vgpr 38
		.amdhsa_next_free_sgpr 44
		.amdhsa_reserve_vcc 1
		.amdhsa_reserve_flat_scratch 0
		.amdhsa_float_round_mode_32 0
		.amdhsa_float_round_mode_16_64 0
		.amdhsa_float_denorm_mode_32 3
		.amdhsa_float_denorm_mode_16_64 3
		.amdhsa_dx10_clamp 1
		.amdhsa_ieee_mode 1
		.amdhsa_fp16_overflow 0
		.amdhsa_exception_fp_ieee_invalid_op 0
		.amdhsa_exception_fp_denorm_src 0
		.amdhsa_exception_fp_ieee_div_zero 0
		.amdhsa_exception_fp_ieee_overflow 0
		.amdhsa_exception_fp_ieee_underflow 0
		.amdhsa_exception_fp_ieee_inexact 0
		.amdhsa_exception_int_div_zero 0
	.end_amdhsa_kernel
	.section	.text._ZN9rocsparseL26coomvn_aos_segmented_loopsILj256Eid21rocsparse_complex_numIdES2_S2_EEvlT0_NS_24const_host_device_scalarIT4_EEPKS3_PKT1_PKT2_PT3_PS3_PS5_21rocsparse_index_base_b,"axG",@progbits,_ZN9rocsparseL26coomvn_aos_segmented_loopsILj256Eid21rocsparse_complex_numIdES2_S2_EEvlT0_NS_24const_host_device_scalarIT4_EEPKS3_PKT1_PKT2_PT3_PS3_PS5_21rocsparse_index_base_b,comdat
.Lfunc_end66:
	.size	_ZN9rocsparseL26coomvn_aos_segmented_loopsILj256Eid21rocsparse_complex_numIdES2_S2_EEvlT0_NS_24const_host_device_scalarIT4_EEPKS3_PKT1_PKT2_PT3_PS3_PS5_21rocsparse_index_base_b, .Lfunc_end66-_ZN9rocsparseL26coomvn_aos_segmented_loopsILj256Eid21rocsparse_complex_numIdES2_S2_EEvlT0_NS_24const_host_device_scalarIT4_EEPKS3_PKT1_PKT2_PT3_PS3_PS5_21rocsparse_index_base_b
                                        ; -- End function
	.set _ZN9rocsparseL26coomvn_aos_segmented_loopsILj256Eid21rocsparse_complex_numIdES2_S2_EEvlT0_NS_24const_host_device_scalarIT4_EEPKS3_PKT1_PKT2_PT3_PS3_PS5_21rocsparse_index_base_b.num_vgpr, 38
	.set _ZN9rocsparseL26coomvn_aos_segmented_loopsILj256Eid21rocsparse_complex_numIdES2_S2_EEvlT0_NS_24const_host_device_scalarIT4_EEPKS3_PKT1_PKT2_PT3_PS3_PS5_21rocsparse_index_base_b.num_agpr, 0
	.set _ZN9rocsparseL26coomvn_aos_segmented_loopsILj256Eid21rocsparse_complex_numIdES2_S2_EEvlT0_NS_24const_host_device_scalarIT4_EEPKS3_PKT1_PKT2_PT3_PS3_PS5_21rocsparse_index_base_b.numbered_sgpr, 44
	.set _ZN9rocsparseL26coomvn_aos_segmented_loopsILj256Eid21rocsparse_complex_numIdES2_S2_EEvlT0_NS_24const_host_device_scalarIT4_EEPKS3_PKT1_PKT2_PT3_PS3_PS5_21rocsparse_index_base_b.num_named_barrier, 0
	.set _ZN9rocsparseL26coomvn_aos_segmented_loopsILj256Eid21rocsparse_complex_numIdES2_S2_EEvlT0_NS_24const_host_device_scalarIT4_EEPKS3_PKT1_PKT2_PT3_PS3_PS5_21rocsparse_index_base_b.private_seg_size, 0
	.set _ZN9rocsparseL26coomvn_aos_segmented_loopsILj256Eid21rocsparse_complex_numIdES2_S2_EEvlT0_NS_24const_host_device_scalarIT4_EEPKS3_PKT1_PKT2_PT3_PS3_PS5_21rocsparse_index_base_b.uses_vcc, 1
	.set _ZN9rocsparseL26coomvn_aos_segmented_loopsILj256Eid21rocsparse_complex_numIdES2_S2_EEvlT0_NS_24const_host_device_scalarIT4_EEPKS3_PKT1_PKT2_PT3_PS3_PS5_21rocsparse_index_base_b.uses_flat_scratch, 0
	.set _ZN9rocsparseL26coomvn_aos_segmented_loopsILj256Eid21rocsparse_complex_numIdES2_S2_EEvlT0_NS_24const_host_device_scalarIT4_EEPKS3_PKT1_PKT2_PT3_PS3_PS5_21rocsparse_index_base_b.has_dyn_sized_stack, 0
	.set _ZN9rocsparseL26coomvn_aos_segmented_loopsILj256Eid21rocsparse_complex_numIdES2_S2_EEvlT0_NS_24const_host_device_scalarIT4_EEPKS3_PKT1_PKT2_PT3_PS3_PS5_21rocsparse_index_base_b.has_recursion, 0
	.set _ZN9rocsparseL26coomvn_aos_segmented_loopsILj256Eid21rocsparse_complex_numIdES2_S2_EEvlT0_NS_24const_host_device_scalarIT4_EEPKS3_PKT1_PKT2_PT3_PS3_PS5_21rocsparse_index_base_b.has_indirect_call, 0
	.section	.AMDGPU.csdata,"",@progbits
; Kernel info:
; codeLenInByte = 2892
; TotalNumSgprs: 48
; NumVgprs: 38
; ScratchSize: 0
; MemoryBound: 1
; FloatMode: 240
; IeeeMode: 1
; LDSByteSize: 5120 bytes/workgroup (compile time only)
; SGPRBlocks: 5
; VGPRBlocks: 9
; NumSGPRsForWavesPerEU: 48
; NumVGPRsForWavesPerEU: 38
; Occupancy: 6
; WaveLimiterHint : 1
; COMPUTE_PGM_RSRC2:SCRATCH_EN: 0
; COMPUTE_PGM_RSRC2:USER_SGPR: 6
; COMPUTE_PGM_RSRC2:TRAP_HANDLER: 0
; COMPUTE_PGM_RSRC2:TGID_X_EN: 1
; COMPUTE_PGM_RSRC2:TGID_Y_EN: 0
; COMPUTE_PGM_RSRC2:TGID_Z_EN: 0
; COMPUTE_PGM_RSRC2:TIDIG_COMP_CNT: 0
	.section	.text._ZN9rocsparseL23coomvn_aos_atomic_loopsILj256ELj1Eld21rocsparse_complex_numIdES2_S2_EEvlNS_24const_host_device_scalarIT5_EEPKT1_PKT2_PKT3_PT4_21rocsparse_index_base_b,"axG",@progbits,_ZN9rocsparseL23coomvn_aos_atomic_loopsILj256ELj1Eld21rocsparse_complex_numIdES2_S2_EEvlNS_24const_host_device_scalarIT5_EEPKT1_PKT2_PKT3_PT4_21rocsparse_index_base_b,comdat
	.globl	_ZN9rocsparseL23coomvn_aos_atomic_loopsILj256ELj1Eld21rocsparse_complex_numIdES2_S2_EEvlNS_24const_host_device_scalarIT5_EEPKT1_PKT2_PKT3_PT4_21rocsparse_index_base_b ; -- Begin function _ZN9rocsparseL23coomvn_aos_atomic_loopsILj256ELj1Eld21rocsparse_complex_numIdES2_S2_EEvlNS_24const_host_device_scalarIT5_EEPKT1_PKT2_PKT3_PT4_21rocsparse_index_base_b
	.p2align	8
	.type	_ZN9rocsparseL23coomvn_aos_atomic_loopsILj256ELj1Eld21rocsparse_complex_numIdES2_S2_EEvlNS_24const_host_device_scalarIT5_EEPKT1_PKT2_PKT3_PT4_21rocsparse_index_base_b,@function
_ZN9rocsparseL23coomvn_aos_atomic_loopsILj256ELj1Eld21rocsparse_complex_numIdES2_S2_EEvlNS_24const_host_device_scalarIT5_EEPKT1_PKT2_PKT3_PT4_21rocsparse_index_base_b: ; @_ZN9rocsparseL23coomvn_aos_atomic_loopsILj256ELj1Eld21rocsparse_complex_numIdES2_S2_EEvlNS_24const_host_device_scalarIT5_EEPKT1_PKT2_PKT3_PT4_21rocsparse_index_base_b
; %bb.0:
	s_load_dwordx2 s[2:3], s[4:5], 0x38
	s_load_dwordx4 s[8:11], s[4:5], 0x0
	s_or_b32 s0, s4, 8
	s_waitcnt lgkmcnt(0)
	s_bitcmp1_b32 s3, 0
	s_cselect_b32 s1, s5, s11
	s_cselect_b32 s0, s0, s10
	v_mov_b32_e32 v1, s0
	v_mov_b32_e32 v2, s1
	flat_load_dwordx4 v[1:4], v[1:2]
	s_waitcnt vmcnt(0) lgkmcnt(0)
	v_cmp_neq_f64_e32 vcc, 0, v[1:2]
	v_cmp_neq_f64_e64 s[0:1], 0, v[3:4]
	s_or_b64 s[0:1], vcc, s[0:1]
	s_and_saveexec_b64 s[10:11], s[0:1]
	s_cbranch_execz .LBB67_46
; %bb.1:
	v_mov_b32_e32 v5, 0
	v_lshl_or_b32 v9, s6, 8, v0
	v_mov_b32_e32 v10, 0
	v_mov_b32_e32 v6, 0
	v_cmp_gt_i64_e32 vcc, s[8:9], v[9:10]
	v_mov_b32_e32 v13, -1
	v_mov_b32_e32 v8, v6
	v_mov_b32_e32 v14, -1
	v_mov_b32_e32 v7, v5
	s_and_saveexec_b64 s[0:1], vcc
	s_cbranch_execz .LBB67_3
; %bb.2:
	s_load_dwordx4 s[8:11], s[4:5], 0x18
	s_load_dwordx2 s[6:7], s[4:5], 0x28
	v_lshlrev_b64 v[5:6], 4, v[9:10]
	s_waitcnt lgkmcnt(0)
	v_mov_b32_e32 v7, s9
	v_add_co_u32_e32 v5, vcc, s8, v5
	v_addc_co_u32_e32 v6, vcc, v7, v6, vcc
	global_load_dwordx4 v[11:14], v[5:6], off glc slc
	v_lshlrev_b64 v[5:6], 3, v[9:10]
	v_mov_b32_e32 v7, s11
	v_add_co_u32_e32 v5, vcc, s10, v5
	v_addc_co_u32_e32 v6, vcc, v7, v6, vcc
	v_mov_b32_e32 v9, s7
	s_waitcnt vmcnt(0)
	v_subrev_co_u32_e32 v7, vcc, s2, v13
	v_subbrev_co_u32_e32 v8, vcc, 0, v14, vcc
	v_lshlrev_b64 v[7:8], 4, v[7:8]
	v_add_co_u32_e32 v13, vcc, s6, v7
	v_addc_co_u32_e32 v14, vcc, v9, v8, vcc
	global_load_dwordx4 v[7:10], v[13:14], off
	global_load_dwordx2 v[15:16], v[5:6], off glc slc
	s_mov_b32 s6, 0
	s_brev_b32 s7, 1
	v_subrev_co_u32_e32 v13, vcc, s2, v11
	v_subbrev_co_u32_e32 v14, vcc, 0, v12, vcc
	s_waitcnt vmcnt(1)
	v_mul_f64 v[5:6], v[9:10], s[6:7]
	s_waitcnt vmcnt(0)
	v_mul_f64 v[9:10], v[15:16], v[9:10]
	v_fma_f64 v[5:6], v[15:16], v[7:8], v[5:6]
	v_fma_f64 v[7:8], v[7:8], 0, v[9:10]
.LBB67_3:
	s_or_b64 exec, exec, s[0:1]
	v_lshlrev_b32_e32 v10, 3, v0
	v_or_b32_e32 v9, 0x1000, v10
	ds_write_b64 v10, v[13:14] offset:4096
	v_lshlrev_b32_e32 v10, 4, v0
	v_cmp_ne_u32_e32 vcc, 0, v0
	ds_write_b128 v10, v[5:8]
	s_waitcnt lgkmcnt(0)
	s_barrier
	s_and_saveexec_b64 s[0:1], vcc
	s_cbranch_execz .LBB67_7
; %bb.4:
	v_add_u32_e32 v11, -8, v9
	ds_read_b64 v[11:12], v11
	s_waitcnt lgkmcnt(0)
	v_cmp_eq_u64_e32 vcc, v[13:14], v[11:12]
	s_and_saveexec_b64 s[2:3], vcc
	s_cbranch_execz .LBB67_6
; %bb.5:
	v_add_u32_e32 v11, -16, v10
	ds_read_b128 v[15:18], v11
	s_waitcnt lgkmcnt(0)
	v_add_f64 v[5:6], v[5:6], v[15:16]
	v_add_f64 v[7:8], v[7:8], v[17:18]
.LBB67_6:
	s_or_b64 exec, exec, s[2:3]
.LBB67_7:
	s_or_b64 exec, exec, s[0:1]
	v_cmp_lt_u32_e32 vcc, 1, v0
	s_barrier
	ds_write_b128 v10, v[5:8]
	s_waitcnt lgkmcnt(0)
	s_barrier
	s_and_saveexec_b64 s[0:1], vcc
	s_cbranch_execz .LBB67_11
; %bb.8:
	v_add_u32_e32 v11, -16, v9
	ds_read_b64 v[11:12], v11
	s_waitcnt lgkmcnt(0)
	v_cmp_eq_u64_e32 vcc, v[13:14], v[11:12]
	s_and_saveexec_b64 s[2:3], vcc
	s_cbranch_execz .LBB67_10
; %bb.9:
	v_subrev_u32_e32 v11, 32, v10
	ds_read_b128 v[15:18], v11
	s_waitcnt lgkmcnt(0)
	v_add_f64 v[5:6], v[5:6], v[15:16]
	v_add_f64 v[7:8], v[7:8], v[17:18]
.LBB67_10:
	s_or_b64 exec, exec, s[2:3]
.LBB67_11:
	s_or_b64 exec, exec, s[0:1]
	v_cmp_lt_u32_e32 vcc, 3, v0
	s_barrier
	ds_write_b128 v10, v[5:8]
	s_waitcnt lgkmcnt(0)
	s_barrier
	s_and_saveexec_b64 s[0:1], vcc
	s_cbranch_execz .LBB67_15
; %bb.12:
	v_subrev_u32_e32 v11, 32, v9
	ds_read_b64 v[11:12], v11
	s_waitcnt lgkmcnt(0)
	v_cmp_eq_u64_e32 vcc, v[13:14], v[11:12]
	s_and_saveexec_b64 s[2:3], vcc
	s_cbranch_execz .LBB67_14
; %bb.13:
	v_subrev_u32_e32 v11, 64, v10
	ds_read_b128 v[15:18], v11
	s_waitcnt lgkmcnt(0)
	v_add_f64 v[5:6], v[5:6], v[15:16]
	v_add_f64 v[7:8], v[7:8], v[17:18]
.LBB67_14:
	s_or_b64 exec, exec, s[2:3]
.LBB67_15:
	s_or_b64 exec, exec, s[0:1]
	v_cmp_lt_u32_e32 vcc, 7, v0
	s_barrier
	ds_write_b128 v10, v[5:8]
	s_waitcnt lgkmcnt(0)
	s_barrier
	s_and_saveexec_b64 s[0:1], vcc
	s_cbranch_execz .LBB67_19
; %bb.16:
	v_subrev_u32_e32 v11, 64, v9
	ds_read_b64 v[11:12], v11
	s_waitcnt lgkmcnt(0)
	v_cmp_eq_u64_e32 vcc, v[13:14], v[11:12]
	s_and_saveexec_b64 s[2:3], vcc
	s_cbranch_execz .LBB67_18
; %bb.17:
	v_add_u32_e32 v11, 0xffffff80, v10
	ds_read_b128 v[15:18], v11
	s_waitcnt lgkmcnt(0)
	v_add_f64 v[5:6], v[5:6], v[15:16]
	v_add_f64 v[7:8], v[7:8], v[17:18]
.LBB67_18:
	s_or_b64 exec, exec, s[2:3]
.LBB67_19:
	s_or_b64 exec, exec, s[0:1]
	v_cmp_lt_u32_e32 vcc, 15, v0
	s_barrier
	ds_write_b128 v10, v[5:8]
	s_waitcnt lgkmcnt(0)
	s_barrier
	s_and_saveexec_b64 s[0:1], vcc
	s_cbranch_execz .LBB67_23
; %bb.20:
	v_add_u32_e32 v11, 0xffffff80, v9
	ds_read_b64 v[11:12], v11
	s_waitcnt lgkmcnt(0)
	v_cmp_eq_u64_e32 vcc, v[13:14], v[11:12]
	s_and_saveexec_b64 s[2:3], vcc
	s_cbranch_execz .LBB67_22
; %bb.21:
	v_add_u32_e32 v11, 0xffffff00, v10
	ds_read_b128 v[15:18], v11
	s_waitcnt lgkmcnt(0)
	v_add_f64 v[5:6], v[5:6], v[15:16]
	v_add_f64 v[7:8], v[7:8], v[17:18]
.LBB67_22:
	s_or_b64 exec, exec, s[2:3]
.LBB67_23:
	s_or_b64 exec, exec, s[0:1]
	v_cmp_lt_u32_e32 vcc, 31, v0
	s_barrier
	ds_write_b128 v10, v[5:8]
	s_waitcnt lgkmcnt(0)
	s_barrier
	s_and_saveexec_b64 s[0:1], vcc
	s_cbranch_execz .LBB67_27
; %bb.24:
	v_add_u32_e32 v11, 0xffffff00, v9
	ds_read_b64 v[11:12], v11
	s_waitcnt lgkmcnt(0)
	v_cmp_eq_u64_e32 vcc, v[13:14], v[11:12]
	s_and_saveexec_b64 s[2:3], vcc
	s_cbranch_execz .LBB67_26
; %bb.25:
	v_add_u32_e32 v11, 0xfffffe00, v10
	ds_read_b128 v[15:18], v11
	s_waitcnt lgkmcnt(0)
	v_add_f64 v[5:6], v[5:6], v[15:16]
	v_add_f64 v[7:8], v[7:8], v[17:18]
.LBB67_26:
	s_or_b64 exec, exec, s[2:3]
.LBB67_27:
	;; [unrolled: 24-line block ×3, first 2 shown]
	s_or_b64 exec, exec, s[0:1]
	s_load_dwordx2 s[2:3], s[4:5], 0x30
	s_movk_i32 s0, 0x7f
	v_cmp_lt_u32_e32 vcc, s0, v0
	s_waitcnt lgkmcnt(0)
	s_barrier
	ds_write_b128 v10, v[5:8]
	s_waitcnt lgkmcnt(0)
	s_barrier
	s_and_saveexec_b64 s[0:1], vcc
	s_cbranch_execz .LBB67_35
; %bb.32:
	v_add_u32_e32 v11, 0xfffffc00, v9
	ds_read_b64 v[11:12], v11
	s_waitcnt lgkmcnt(0)
	v_cmp_eq_u64_e32 vcc, v[13:14], v[11:12]
	s_and_saveexec_b64 s[4:5], vcc
	s_cbranch_execz .LBB67_34
; %bb.33:
	v_add_u32_e32 v11, 0xfffff800, v10
	ds_read_b128 v[15:18], v11
	s_waitcnt lgkmcnt(0)
	v_add_f64 v[5:6], v[5:6], v[15:16]
	v_add_f64 v[7:8], v[7:8], v[17:18]
.LBB67_34:
	s_or_b64 exec, exec, s[4:5]
.LBB67_35:
	s_or_b64 exec, exec, s[0:1]
	s_movk_i32 s6, 0xff
	v_cmp_gt_u32_e32 vcc, s6, v0
	s_barrier
	ds_write_b128 v10, v[5:8]
	s_waitcnt lgkmcnt(0)
	s_barrier
	s_and_saveexec_b64 s[4:5], vcc
	s_cbranch_execz .LBB67_41
; %bb.36:
	ds_read_b64 v[9:10], v9 offset:8
	v_cmp_lt_i64_e64 s[0:1], -1, v[13:14]
	s_waitcnt lgkmcnt(0)
	v_cmp_ne_u64_e32 vcc, v[13:14], v[9:10]
	s_and_b64 s[0:1], s[0:1], vcc
	s_and_b64 exec, exec, s[0:1]
	s_cbranch_execz .LBB67_41
; %bb.37:
	v_lshlrev_b64 v[9:10], 4, v[13:14]
	v_mov_b32_e32 v11, s3
	v_add_co_u32_e32 v15, vcc, s2, v9
	v_addc_co_u32_e32 v16, vcc, v11, v10, vcc
	global_load_dwordx2 v[11:12], v[15:16], off
	v_mul_f64 v[9:10], v[7:8], -v[3:4]
	s_mov_b64 s[0:1], 0
	v_fma_f64 v[17:18], v[1:2], v[5:6], v[9:10]
.LBB67_38:                              ; =>This Inner Loop Header: Depth=1
	s_waitcnt vmcnt(0)
	v_add_f64 v[9:10], v[11:12], v[17:18]
	global_atomic_cmpswap_x2 v[9:10], v[15:16], v[9:12], off glc
	s_waitcnt vmcnt(0)
	v_cmp_eq_u64_e32 vcc, v[9:10], v[11:12]
	v_mov_b32_e32 v12, v10
	s_or_b64 s[0:1], vcc, s[0:1]
	v_mov_b32_e32 v11, v9
	s_andn2_b64 exec, exec, s[0:1]
	s_cbranch_execnz .LBB67_38
; %bb.39:
	s_or_b64 exec, exec, s[0:1]
	global_load_dwordx2 v[11:12], v[15:16], off offset:8
	v_mul_f64 v[9:10], v[1:2], v[7:8]
	s_mov_b64 s[0:1], 0
	v_fma_f64 v[17:18], v[3:4], v[5:6], v[9:10]
.LBB67_40:                              ; =>This Inner Loop Header: Depth=1
	s_waitcnt vmcnt(0)
	v_add_f64 v[9:10], v[11:12], v[17:18]
	global_atomic_cmpswap_x2 v[9:10], v[15:16], v[9:12], off offset:8 glc
	s_waitcnt vmcnt(0)
	v_cmp_eq_u64_e32 vcc, v[9:10], v[11:12]
	v_mov_b32_e32 v12, v10
	s_or_b64 s[0:1], vcc, s[0:1]
	v_mov_b32_e32 v11, v9
	s_andn2_b64 exec, exec, s[0:1]
	s_cbranch_execnz .LBB67_40
.LBB67_41:
	s_or_b64 exec, exec, s[4:5]
	v_cmp_lt_i64_e32 vcc, -1, v[13:14]
	v_cmp_eq_u32_e64 s[0:1], s6, v0
	s_and_b64 s[0:1], s[0:1], vcc
	s_and_b64 exec, exec, s[0:1]
	s_cbranch_execz .LBB67_46
; %bb.42:
	v_lshlrev_b64 v[9:10], 4, v[13:14]
	v_mov_b32_e32 v0, s3
	v_add_co_u32_e32 v13, vcc, s2, v9
	v_addc_co_u32_e32 v14, vcc, v0, v10, vcc
	global_load_dwordx2 v[11:12], v[13:14], off
	v_mul_f64 v[9:10], v[7:8], -v[3:4]
	s_mov_b64 s[0:1], 0
	v_fma_f64 v[15:16], v[1:2], v[5:6], v[9:10]
.LBB67_43:                              ; =>This Inner Loop Header: Depth=1
	s_waitcnt vmcnt(0)
	v_add_f64 v[9:10], v[11:12], v[15:16]
	global_atomic_cmpswap_x2 v[9:10], v[13:14], v[9:12], off glc
	s_waitcnt vmcnt(0)
	v_cmp_eq_u64_e32 vcc, v[9:10], v[11:12]
	v_mov_b32_e32 v12, v10
	s_or_b64 s[0:1], vcc, s[0:1]
	v_mov_b32_e32 v11, v9
	s_andn2_b64 exec, exec, s[0:1]
	s_cbranch_execnz .LBB67_43
; %bb.44:
	s_or_b64 exec, exec, s[0:1]
	global_load_dwordx2 v[9:10], v[13:14], off offset:8
	v_mul_f64 v[0:1], v[1:2], v[7:8]
	s_mov_b64 s[0:1], 0
	v_fma_f64 v[0:1], v[3:4], v[5:6], v[0:1]
.LBB67_45:                              ; =>This Inner Loop Header: Depth=1
	s_waitcnt vmcnt(0)
	v_add_f64 v[7:8], v[9:10], v[0:1]
	global_atomic_cmpswap_x2 v[2:3], v[13:14], v[7:10], off offset:8 glc
	s_waitcnt vmcnt(0)
	v_cmp_eq_u64_e32 vcc, v[2:3], v[9:10]
	v_mov_b32_e32 v10, v3
	s_or_b64 s[0:1], vcc, s[0:1]
	v_mov_b32_e32 v9, v2
	s_andn2_b64 exec, exec, s[0:1]
	s_cbranch_execnz .LBB67_45
.LBB67_46:
	s_endpgm
	.section	.rodata,"a",@progbits
	.p2align	6, 0x0
	.amdhsa_kernel _ZN9rocsparseL23coomvn_aos_atomic_loopsILj256ELj1Eld21rocsparse_complex_numIdES2_S2_EEvlNS_24const_host_device_scalarIT5_EEPKT1_PKT2_PKT3_PT4_21rocsparse_index_base_b
		.amdhsa_group_segment_fixed_size 6144
		.amdhsa_private_segment_fixed_size 0
		.amdhsa_kernarg_size 64
		.amdhsa_user_sgpr_count 6
		.amdhsa_user_sgpr_private_segment_buffer 1
		.amdhsa_user_sgpr_dispatch_ptr 0
		.amdhsa_user_sgpr_queue_ptr 0
		.amdhsa_user_sgpr_kernarg_segment_ptr 1
		.amdhsa_user_sgpr_dispatch_id 0
		.amdhsa_user_sgpr_flat_scratch_init 0
		.amdhsa_user_sgpr_private_segment_size 0
		.amdhsa_uses_dynamic_stack 0
		.amdhsa_system_sgpr_private_segment_wavefront_offset 0
		.amdhsa_system_sgpr_workgroup_id_x 1
		.amdhsa_system_sgpr_workgroup_id_y 0
		.amdhsa_system_sgpr_workgroup_id_z 0
		.amdhsa_system_sgpr_workgroup_info 0
		.amdhsa_system_vgpr_workitem_id 0
		.amdhsa_next_free_vgpr 19
		.amdhsa_next_free_sgpr 12
		.amdhsa_reserve_vcc 1
		.amdhsa_reserve_flat_scratch 0
		.amdhsa_float_round_mode_32 0
		.amdhsa_float_round_mode_16_64 0
		.amdhsa_float_denorm_mode_32 3
		.amdhsa_float_denorm_mode_16_64 3
		.amdhsa_dx10_clamp 1
		.amdhsa_ieee_mode 1
		.amdhsa_fp16_overflow 0
		.amdhsa_exception_fp_ieee_invalid_op 0
		.amdhsa_exception_fp_denorm_src 0
		.amdhsa_exception_fp_ieee_div_zero 0
		.amdhsa_exception_fp_ieee_overflow 0
		.amdhsa_exception_fp_ieee_underflow 0
		.amdhsa_exception_fp_ieee_inexact 0
		.amdhsa_exception_int_div_zero 0
	.end_amdhsa_kernel
	.section	.text._ZN9rocsparseL23coomvn_aos_atomic_loopsILj256ELj1Eld21rocsparse_complex_numIdES2_S2_EEvlNS_24const_host_device_scalarIT5_EEPKT1_PKT2_PKT3_PT4_21rocsparse_index_base_b,"axG",@progbits,_ZN9rocsparseL23coomvn_aos_atomic_loopsILj256ELj1Eld21rocsparse_complex_numIdES2_S2_EEvlNS_24const_host_device_scalarIT5_EEPKT1_PKT2_PKT3_PT4_21rocsparse_index_base_b,comdat
.Lfunc_end67:
	.size	_ZN9rocsparseL23coomvn_aos_atomic_loopsILj256ELj1Eld21rocsparse_complex_numIdES2_S2_EEvlNS_24const_host_device_scalarIT5_EEPKT1_PKT2_PKT3_PT4_21rocsparse_index_base_b, .Lfunc_end67-_ZN9rocsparseL23coomvn_aos_atomic_loopsILj256ELj1Eld21rocsparse_complex_numIdES2_S2_EEvlNS_24const_host_device_scalarIT5_EEPKT1_PKT2_PKT3_PT4_21rocsparse_index_base_b
                                        ; -- End function
	.set _ZN9rocsparseL23coomvn_aos_atomic_loopsILj256ELj1Eld21rocsparse_complex_numIdES2_S2_EEvlNS_24const_host_device_scalarIT5_EEPKT1_PKT2_PKT3_PT4_21rocsparse_index_base_b.num_vgpr, 19
	.set _ZN9rocsparseL23coomvn_aos_atomic_loopsILj256ELj1Eld21rocsparse_complex_numIdES2_S2_EEvlNS_24const_host_device_scalarIT5_EEPKT1_PKT2_PKT3_PT4_21rocsparse_index_base_b.num_agpr, 0
	.set _ZN9rocsparseL23coomvn_aos_atomic_loopsILj256ELj1Eld21rocsparse_complex_numIdES2_S2_EEvlNS_24const_host_device_scalarIT5_EEPKT1_PKT2_PKT3_PT4_21rocsparse_index_base_b.numbered_sgpr, 12
	.set _ZN9rocsparseL23coomvn_aos_atomic_loopsILj256ELj1Eld21rocsparse_complex_numIdES2_S2_EEvlNS_24const_host_device_scalarIT5_EEPKT1_PKT2_PKT3_PT4_21rocsparse_index_base_b.num_named_barrier, 0
	.set _ZN9rocsparseL23coomvn_aos_atomic_loopsILj256ELj1Eld21rocsparse_complex_numIdES2_S2_EEvlNS_24const_host_device_scalarIT5_EEPKT1_PKT2_PKT3_PT4_21rocsparse_index_base_b.private_seg_size, 0
	.set _ZN9rocsparseL23coomvn_aos_atomic_loopsILj256ELj1Eld21rocsparse_complex_numIdES2_S2_EEvlNS_24const_host_device_scalarIT5_EEPKT1_PKT2_PKT3_PT4_21rocsparse_index_base_b.uses_vcc, 1
	.set _ZN9rocsparseL23coomvn_aos_atomic_loopsILj256ELj1Eld21rocsparse_complex_numIdES2_S2_EEvlNS_24const_host_device_scalarIT5_EEPKT1_PKT2_PKT3_PT4_21rocsparse_index_base_b.uses_flat_scratch, 0
	.set _ZN9rocsparseL23coomvn_aos_atomic_loopsILj256ELj1Eld21rocsparse_complex_numIdES2_S2_EEvlNS_24const_host_device_scalarIT5_EEPKT1_PKT2_PKT3_PT4_21rocsparse_index_base_b.has_dyn_sized_stack, 0
	.set _ZN9rocsparseL23coomvn_aos_atomic_loopsILj256ELj1Eld21rocsparse_complex_numIdES2_S2_EEvlNS_24const_host_device_scalarIT5_EEPKT1_PKT2_PKT3_PT4_21rocsparse_index_base_b.has_recursion, 0
	.set _ZN9rocsparseL23coomvn_aos_atomic_loopsILj256ELj1Eld21rocsparse_complex_numIdES2_S2_EEvlNS_24const_host_device_scalarIT5_EEPKT1_PKT2_PKT3_PT4_21rocsparse_index_base_b.has_indirect_call, 0
	.section	.AMDGPU.csdata,"",@progbits
; Kernel info:
; codeLenInByte = 1632
; TotalNumSgprs: 16
; NumVgprs: 19
; ScratchSize: 0
; MemoryBound: 0
; FloatMode: 240
; IeeeMode: 1
; LDSByteSize: 6144 bytes/workgroup (compile time only)
; SGPRBlocks: 1
; VGPRBlocks: 4
; NumSGPRsForWavesPerEU: 16
; NumVGPRsForWavesPerEU: 19
; Occupancy: 10
; WaveLimiterHint : 1
; COMPUTE_PGM_RSRC2:SCRATCH_EN: 0
; COMPUTE_PGM_RSRC2:USER_SGPR: 6
; COMPUTE_PGM_RSRC2:TRAP_HANDLER: 0
; COMPUTE_PGM_RSRC2:TGID_X_EN: 1
; COMPUTE_PGM_RSRC2:TGID_Y_EN: 0
; COMPUTE_PGM_RSRC2:TGID_Z_EN: 0
; COMPUTE_PGM_RSRC2:TIDIG_COMP_CNT: 0
	.section	.text._ZN9rocsparseL17coomvt_aos_kernelILj1024Eld21rocsparse_complex_numIdES2_S2_EEv20rocsparse_operation_lNS_24const_host_device_scalarIT4_EEPKT0_PKT1_PKT2_PT3_21rocsparse_index_base_b,"axG",@progbits,_ZN9rocsparseL17coomvt_aos_kernelILj1024Eld21rocsparse_complex_numIdES2_S2_EEv20rocsparse_operation_lNS_24const_host_device_scalarIT4_EEPKT0_PKT1_PKT2_PT3_21rocsparse_index_base_b,comdat
	.globl	_ZN9rocsparseL17coomvt_aos_kernelILj1024Eld21rocsparse_complex_numIdES2_S2_EEv20rocsparse_operation_lNS_24const_host_device_scalarIT4_EEPKT0_PKT1_PKT2_PT3_21rocsparse_index_base_b ; -- Begin function _ZN9rocsparseL17coomvt_aos_kernelILj1024Eld21rocsparse_complex_numIdES2_S2_EEv20rocsparse_operation_lNS_24const_host_device_scalarIT4_EEPKT0_PKT1_PKT2_PT3_21rocsparse_index_base_b
	.p2align	8
	.type	_ZN9rocsparseL17coomvt_aos_kernelILj1024Eld21rocsparse_complex_numIdES2_S2_EEv20rocsparse_operation_lNS_24const_host_device_scalarIT4_EEPKT0_PKT1_PKT2_PT3_21rocsparse_index_base_b,@function
_ZN9rocsparseL17coomvt_aos_kernelILj1024Eld21rocsparse_complex_numIdES2_S2_EEv20rocsparse_operation_lNS_24const_host_device_scalarIT4_EEPKT0_PKT1_PKT2_PT3_21rocsparse_index_base_b: ; @_ZN9rocsparseL17coomvt_aos_kernelILj1024Eld21rocsparse_complex_numIdES2_S2_EEv20rocsparse_operation_lNS_24const_host_device_scalarIT4_EEPKT0_PKT1_PKT2_PT3_21rocsparse_index_base_b
; %bb.0:
	s_load_dwordx2 s[2:3], s[4:5], 0x40
	s_load_dwordx4 s[8:11], s[4:5], 0x8
	s_add_u32 s0, s4, 16
	s_addc_u32 s1, s5, 0
	s_waitcnt lgkmcnt(0)
	s_bitcmp1_b32 s3, 0
	s_cselect_b32 s1, s1, s11
	s_cselect_b32 s0, s0, s10
	v_mov_b32_e32 v1, s0
	v_mov_b32_e32 v2, s1
	flat_load_dwordx4 v[1:4], v[1:2]
	s_waitcnt vmcnt(0) lgkmcnt(0)
	v_cmp_neq_f64_e32 vcc, 0, v[1:2]
	v_cmp_neq_f64_e64 s[0:1], 0, v[3:4]
	s_or_b64 s[0:1], vcc, s[0:1]
	s_and_saveexec_b64 s[10:11], s[0:1]
	s_cbranch_execz .LBB68_6
; %bb.1:
	s_load_dword s0, s[4:5], 0x54
	v_mov_b32_e32 v6, 0
	s_waitcnt lgkmcnt(0)
	s_and_b32 s0, s0, 0xffff
	s_mul_i32 s6, s6, s0
	v_add_u32_e32 v5, s6, v0
	v_cmp_gt_i64_e32 vcc, s[8:9], v[5:6]
	s_and_b64 exec, exec, vcc
	s_cbranch_execz .LBB68_6
; %bb.2:
	s_load_dwordx8 s[8:15], s[4:5], 0x20
	v_lshlrev_b64 v[7:8], 4, v[5:6]
	v_lshlrev_b64 v[5:6], 3, v[5:6]
	s_mov_b32 s0, 0
	s_brev_b32 s1, 1
	s_waitcnt lgkmcnt(0)
	v_mov_b32_e32 v0, s9
	v_add_co_u32_e32 v7, vcc, s8, v7
	v_addc_co_u32_e32 v8, vcc, v0, v8, vcc
	global_load_dwordx4 v[7:10], v[7:8], off
	v_mov_b32_e32 v0, s11
	v_add_co_u32_e32 v5, vcc, s10, v5
	v_addc_co_u32_e32 v6, vcc, v0, v6, vcc
	global_load_dwordx2 v[17:18], v[5:6], off
	v_mov_b32_e32 v11, s13
	v_mov_b32_e32 v0, s15
	v_mul_f64 v[19:20], v[3:4], s[0:1]
	s_mov_b64 s[0:1], 0
	s_waitcnt vmcnt(1)
	v_subrev_co_u32_e32 v5, vcc, s2, v7
	v_subbrev_co_u32_e32 v6, vcc, 0, v8, vcc
	v_lshlrev_b64 v[5:6], 4, v[5:6]
	v_add_co_u32_e32 v5, vcc, s12, v5
	v_addc_co_u32_e32 v6, vcc, v11, v6, vcc
	global_load_dwordx4 v[5:8], v[5:6], off
	v_subrev_co_u32_e32 v9, vcc, s2, v9
	v_subbrev_co_u32_e32 v10, vcc, 0, v10, vcc
	v_lshlrev_b64 v[9:10], 4, v[9:10]
	v_add_co_u32_e32 v13, vcc, s14, v9
	v_addc_co_u32_e32 v14, vcc, v0, v10, vcc
	global_load_dwordx2 v[11:12], v[13:14], off
	v_mul_f64 v[9:10], v[1:2], 0
	s_waitcnt vmcnt(2)
	v_fma_f64 v[0:1], v[1:2], v[17:18], v[19:20]
	v_fma_f64 v[15:16], v[3:4], v[17:18], v[9:10]
	s_waitcnt vmcnt(1)
	v_mul_f64 v[2:3], v[7:8], -v[15:16]
	v_fma_f64 v[2:3], v[0:1], v[5:6], v[2:3]
.LBB68_3:                               ; =>This Inner Loop Header: Depth=1
	s_waitcnt vmcnt(0)
	v_add_f64 v[9:10], v[11:12], v[2:3]
	global_atomic_cmpswap_x2 v[9:10], v[13:14], v[9:12], off glc
	s_waitcnt vmcnt(0)
	v_cmp_eq_u64_e32 vcc, v[9:10], v[11:12]
	v_mov_b32_e32 v12, v10
	s_or_b64 s[0:1], vcc, s[0:1]
	v_mov_b32_e32 v11, v9
	s_andn2_b64 exec, exec, s[0:1]
	s_cbranch_execnz .LBB68_3
; %bb.4:
	s_or_b64 exec, exec, s[0:1]
	global_load_dwordx2 v[2:3], v[13:14], off offset:8
	v_mul_f64 v[0:1], v[0:1], v[7:8]
	s_mov_b64 s[0:1], 0
	v_fma_f64 v[4:5], v[15:16], v[5:6], v[0:1]
.LBB68_5:                               ; =>This Inner Loop Header: Depth=1
	s_waitcnt vmcnt(0)
	v_add_f64 v[0:1], v[2:3], v[4:5]
	global_atomic_cmpswap_x2 v[0:1], v[13:14], v[0:3], off offset:8 glc
	s_waitcnt vmcnt(0)
	v_cmp_eq_u64_e32 vcc, v[0:1], v[2:3]
	v_mov_b32_e32 v3, v1
	s_or_b64 s[0:1], vcc, s[0:1]
	v_mov_b32_e32 v2, v0
	s_andn2_b64 exec, exec, s[0:1]
	s_cbranch_execnz .LBB68_5
.LBB68_6:
	s_endpgm
	.section	.rodata,"a",@progbits
	.p2align	6, 0x0
	.amdhsa_kernel _ZN9rocsparseL17coomvt_aos_kernelILj1024Eld21rocsparse_complex_numIdES2_S2_EEv20rocsparse_operation_lNS_24const_host_device_scalarIT4_EEPKT0_PKT1_PKT2_PT3_21rocsparse_index_base_b
		.amdhsa_group_segment_fixed_size 0
		.amdhsa_private_segment_fixed_size 0
		.amdhsa_kernarg_size 328
		.amdhsa_user_sgpr_count 6
		.amdhsa_user_sgpr_private_segment_buffer 1
		.amdhsa_user_sgpr_dispatch_ptr 0
		.amdhsa_user_sgpr_queue_ptr 0
		.amdhsa_user_sgpr_kernarg_segment_ptr 1
		.amdhsa_user_sgpr_dispatch_id 0
		.amdhsa_user_sgpr_flat_scratch_init 0
		.amdhsa_user_sgpr_private_segment_size 0
		.amdhsa_uses_dynamic_stack 0
		.amdhsa_system_sgpr_private_segment_wavefront_offset 0
		.amdhsa_system_sgpr_workgroup_id_x 1
		.amdhsa_system_sgpr_workgroup_id_y 0
		.amdhsa_system_sgpr_workgroup_id_z 0
		.amdhsa_system_sgpr_workgroup_info 0
		.amdhsa_system_vgpr_workitem_id 0
		.amdhsa_next_free_vgpr 21
		.amdhsa_next_free_sgpr 16
		.amdhsa_reserve_vcc 1
		.amdhsa_reserve_flat_scratch 0
		.amdhsa_float_round_mode_32 0
		.amdhsa_float_round_mode_16_64 0
		.amdhsa_float_denorm_mode_32 3
		.amdhsa_float_denorm_mode_16_64 3
		.amdhsa_dx10_clamp 1
		.amdhsa_ieee_mode 1
		.amdhsa_fp16_overflow 0
		.amdhsa_exception_fp_ieee_invalid_op 0
		.amdhsa_exception_fp_denorm_src 0
		.amdhsa_exception_fp_ieee_div_zero 0
		.amdhsa_exception_fp_ieee_overflow 0
		.amdhsa_exception_fp_ieee_underflow 0
		.amdhsa_exception_fp_ieee_inexact 0
		.amdhsa_exception_int_div_zero 0
	.end_amdhsa_kernel
	.section	.text._ZN9rocsparseL17coomvt_aos_kernelILj1024Eld21rocsparse_complex_numIdES2_S2_EEv20rocsparse_operation_lNS_24const_host_device_scalarIT4_EEPKT0_PKT1_PKT2_PT3_21rocsparse_index_base_b,"axG",@progbits,_ZN9rocsparseL17coomvt_aos_kernelILj1024Eld21rocsparse_complex_numIdES2_S2_EEv20rocsparse_operation_lNS_24const_host_device_scalarIT4_EEPKT0_PKT1_PKT2_PT3_21rocsparse_index_base_b,comdat
.Lfunc_end68:
	.size	_ZN9rocsparseL17coomvt_aos_kernelILj1024Eld21rocsparse_complex_numIdES2_S2_EEv20rocsparse_operation_lNS_24const_host_device_scalarIT4_EEPKT0_PKT1_PKT2_PT3_21rocsparse_index_base_b, .Lfunc_end68-_ZN9rocsparseL17coomvt_aos_kernelILj1024Eld21rocsparse_complex_numIdES2_S2_EEv20rocsparse_operation_lNS_24const_host_device_scalarIT4_EEPKT0_PKT1_PKT2_PT3_21rocsparse_index_base_b
                                        ; -- End function
	.set _ZN9rocsparseL17coomvt_aos_kernelILj1024Eld21rocsparse_complex_numIdES2_S2_EEv20rocsparse_operation_lNS_24const_host_device_scalarIT4_EEPKT0_PKT1_PKT2_PT3_21rocsparse_index_base_b.num_vgpr, 21
	.set _ZN9rocsparseL17coomvt_aos_kernelILj1024Eld21rocsparse_complex_numIdES2_S2_EEv20rocsparse_operation_lNS_24const_host_device_scalarIT4_EEPKT0_PKT1_PKT2_PT3_21rocsparse_index_base_b.num_agpr, 0
	.set _ZN9rocsparseL17coomvt_aos_kernelILj1024Eld21rocsparse_complex_numIdES2_S2_EEv20rocsparse_operation_lNS_24const_host_device_scalarIT4_EEPKT0_PKT1_PKT2_PT3_21rocsparse_index_base_b.numbered_sgpr, 16
	.set _ZN9rocsparseL17coomvt_aos_kernelILj1024Eld21rocsparse_complex_numIdES2_S2_EEv20rocsparse_operation_lNS_24const_host_device_scalarIT4_EEPKT0_PKT1_PKT2_PT3_21rocsparse_index_base_b.num_named_barrier, 0
	.set _ZN9rocsparseL17coomvt_aos_kernelILj1024Eld21rocsparse_complex_numIdES2_S2_EEv20rocsparse_operation_lNS_24const_host_device_scalarIT4_EEPKT0_PKT1_PKT2_PT3_21rocsparse_index_base_b.private_seg_size, 0
	.set _ZN9rocsparseL17coomvt_aos_kernelILj1024Eld21rocsparse_complex_numIdES2_S2_EEv20rocsparse_operation_lNS_24const_host_device_scalarIT4_EEPKT0_PKT1_PKT2_PT3_21rocsparse_index_base_b.uses_vcc, 1
	.set _ZN9rocsparseL17coomvt_aos_kernelILj1024Eld21rocsparse_complex_numIdES2_S2_EEv20rocsparse_operation_lNS_24const_host_device_scalarIT4_EEPKT0_PKT1_PKT2_PT3_21rocsparse_index_base_b.uses_flat_scratch, 0
	.set _ZN9rocsparseL17coomvt_aos_kernelILj1024Eld21rocsparse_complex_numIdES2_S2_EEv20rocsparse_operation_lNS_24const_host_device_scalarIT4_EEPKT0_PKT1_PKT2_PT3_21rocsparse_index_base_b.has_dyn_sized_stack, 0
	.set _ZN9rocsparseL17coomvt_aos_kernelILj1024Eld21rocsparse_complex_numIdES2_S2_EEv20rocsparse_operation_lNS_24const_host_device_scalarIT4_EEPKT0_PKT1_PKT2_PT3_21rocsparse_index_base_b.has_recursion, 0
	.set _ZN9rocsparseL17coomvt_aos_kernelILj1024Eld21rocsparse_complex_numIdES2_S2_EEv20rocsparse_operation_lNS_24const_host_device_scalarIT4_EEPKT0_PKT1_PKT2_PT3_21rocsparse_index_base_b.has_indirect_call, 0
	.section	.AMDGPU.csdata,"",@progbits
; Kernel info:
; codeLenInByte = 472
; TotalNumSgprs: 20
; NumVgprs: 21
; ScratchSize: 0
; MemoryBound: 0
; FloatMode: 240
; IeeeMode: 1
; LDSByteSize: 0 bytes/workgroup (compile time only)
; SGPRBlocks: 2
; VGPRBlocks: 5
; NumSGPRsForWavesPerEU: 20
; NumVGPRsForWavesPerEU: 21
; Occupancy: 10
; WaveLimiterHint : 1
; COMPUTE_PGM_RSRC2:SCRATCH_EN: 0
; COMPUTE_PGM_RSRC2:USER_SGPR: 6
; COMPUTE_PGM_RSRC2:TRAP_HANDLER: 0
; COMPUTE_PGM_RSRC2:TGID_X_EN: 1
; COMPUTE_PGM_RSRC2:TGID_Y_EN: 0
; COMPUTE_PGM_RSRC2:TGID_Z_EN: 0
; COMPUTE_PGM_RSRC2:TIDIG_COMP_CNT: 0
	.section	.text._ZN9rocsparseL26coomvn_aos_segmented_loopsILj256Eld21rocsparse_complex_numIdES2_S2_EEvlT0_NS_24const_host_device_scalarIT4_EEPKS3_PKT1_PKT2_PT3_PS3_PS5_21rocsparse_index_base_b,"axG",@progbits,_ZN9rocsparseL26coomvn_aos_segmented_loopsILj256Eld21rocsparse_complex_numIdES2_S2_EEvlT0_NS_24const_host_device_scalarIT4_EEPKS3_PKT1_PKT2_PT3_PS3_PS5_21rocsparse_index_base_b,comdat
	.globl	_ZN9rocsparseL26coomvn_aos_segmented_loopsILj256Eld21rocsparse_complex_numIdES2_S2_EEvlT0_NS_24const_host_device_scalarIT4_EEPKS3_PKT1_PKT2_PT3_PS3_PS5_21rocsparse_index_base_b ; -- Begin function _ZN9rocsparseL26coomvn_aos_segmented_loopsILj256Eld21rocsparse_complex_numIdES2_S2_EEvlT0_NS_24const_host_device_scalarIT4_EEPKS3_PKT1_PKT2_PT3_PS3_PS5_21rocsparse_index_base_b
	.p2align	8
	.type	_ZN9rocsparseL26coomvn_aos_segmented_loopsILj256Eld21rocsparse_complex_numIdES2_S2_EEvlT0_NS_24const_host_device_scalarIT4_EEPKS3_PKT1_PKT2_PT3_PS3_PS5_21rocsparse_index_base_b,@function
_ZN9rocsparseL26coomvn_aos_segmented_loopsILj256Eld21rocsparse_complex_numIdES2_S2_EEvlT0_NS_24const_host_device_scalarIT4_EEPKS3_PKT1_PKT2_PT3_PS3_PS5_21rocsparse_index_base_b: ; @_ZN9rocsparseL26coomvn_aos_segmented_loopsILj256Eld21rocsparse_complex_numIdES2_S2_EEvlT0_NS_24const_host_device_scalarIT4_EEPKS3_PKT1_PKT2_PT3_PS3_PS5_21rocsparse_index_base_b
; %bb.0:
	s_load_dwordx2 s[34:35], s[4:5], 0x50
	s_load_dwordx2 s[0:1], s[4:5], 0x10
	s_add_u32 s2, s4, 16
	s_addc_u32 s3, s5, 0
	s_waitcnt lgkmcnt(0)
	s_bitcmp1_b32 s35, 0
	s_cselect_b32 s1, s3, s1
	s_cselect_b32 s0, s2, s0
	v_mov_b32_e32 v1, s0
	v_mov_b32_e32 v2, s1
	flat_load_dwordx4 v[1:4], v[1:2]
	s_waitcnt vmcnt(0) lgkmcnt(0)
	v_cmp_neq_f64_e32 vcc, 0, v[1:2]
	v_cmp_neq_f64_e64 s[0:1], 0, v[3:4]
	s_or_b64 s[0:1], vcc, s[0:1]
	s_and_saveexec_b64 s[2:3], s[0:1]
	s_cbranch_execz .LBB69_87
; %bb.1:
	s_load_dwordx4 s[28:31], s[4:5], 0x0
	s_load_dwordx4 s[36:39], s[4:5], 0x20
	s_load_dwordx2 s[44:45], s[4:5], 0x30
	v_mov_b32_e32 v5, 0
	v_mov_b32_e32 v6, 0
	s_waitcnt lgkmcnt(0)
	s_mul_i32 s0, s6, s31
	s_mul_hi_u32 s1, s6, s30
	s_add_i32 s1, s1, s0
	s_mul_i32 s0, s6, s30
	s_lshl_b64 s[0:1], s[0:1], 8
	v_or_b32_e32 v15, s0, v0
	v_mov_b32_e32 v16, s1
	v_cmp_gt_i64_e32 vcc, s[28:29], v[15:16]
	v_mov_b32_e32 v9, -1
	v_mov_b32_e32 v8, v6
	s_mov_b32 s7, 0
	v_mov_b32_e32 v10, -1
	v_mov_b32_e32 v7, v5
	s_and_saveexec_b64 s[0:1], vcc
	s_cbranch_execz .LBB69_3
; %bb.2:
	v_lshlrev_b64 v[5:6], 4, v[15:16]
	v_mov_b32_e32 v7, s37
	v_add_co_u32_e32 v5, vcc, s36, v5
	v_addc_co_u32_e32 v6, vcc, v7, v6, vcc
	global_load_dwordx4 v[9:12], v[5:6], off glc slc
	v_lshlrev_b64 v[5:6], 3, v[15:16]
	v_mov_b32_e32 v7, s39
	v_add_co_u32_e32 v5, vcc, s38, v5
	v_addc_co_u32_e32 v6, vcc, v7, v6, vcc
	v_mov_b32_e32 v13, s45
	s_ashr_i32 s35, s34, 31
	s_lshl_b64 s[2:3], s[34:35], 4
	v_mov_b32_e32 v14, s3
	s_waitcnt vmcnt(0)
	v_lshlrev_b64 v[7:8], 4, v[11:12]
	v_add_co_u32_e32 v7, vcc, s44, v7
	v_addc_co_u32_e32 v8, vcc, v13, v8, vcc
	v_subrev_co_u32_e32 v7, vcc, s2, v7
	v_subb_co_u32_e32 v8, vcc, v8, v14, vcc
	global_load_dwordx4 v[11:14], v[7:8], off
	global_load_dwordx2 v[17:18], v[5:6], off glc slc
	s_mov_b32 s2, 0
	s_brev_b32 s3, 1
	v_subrev_co_u32_e32 v9, vcc, s34, v9
	v_subbrev_co_u32_e32 v10, vcc, 0, v10, vcc
	s_waitcnt vmcnt(1)
	v_mul_f64 v[5:6], v[13:14], s[2:3]
	s_waitcnt vmcnt(0)
	v_mul_f64 v[7:8], v[17:18], v[13:14]
	v_fma_f64 v[5:6], v[17:18], v[11:12], v[5:6]
	v_fma_f64 v[7:8], v[11:12], 0, v[7:8]
.LBB69_3:
	s_or_b64 exec, exec, s[0:1]
	v_lshlrev_b32_e32 v11, 3, v0
	v_or_b32_e32 v19, 0x1000, v11
	v_lshlrev_b32_e32 v20, 4, v0
	v_cmp_eq_u32_e64 s[0:1], 0, v0
	v_cmp_ne_u32_e64 s[2:3], 0, v0
	v_add_u32_e32 v21, -8, v19
	ds_write_b64 v11, v[9:10] offset:4096
	ds_write_b128 v20, v[5:8]
	s_waitcnt lgkmcnt(0)
	s_barrier
	s_and_saveexec_b64 s[8:9], s[2:3]
	s_cbranch_execz .LBB69_7
; %bb.4:
	ds_read_b64 v[12:13], v21
	s_waitcnt lgkmcnt(0)
	v_cmp_eq_u64_e32 vcc, v[9:10], v[12:13]
	s_and_saveexec_b64 s[10:11], vcc
	s_cbranch_execz .LBB69_6
; %bb.5:
	v_add_u32_e32 v12, -16, v20
	ds_read_b128 v[22:25], v12
	s_waitcnt lgkmcnt(0)
	v_add_f64 v[5:6], v[5:6], v[22:23]
	v_add_f64 v[7:8], v[7:8], v[24:25]
.LBB69_6:
	s_or_b64 exec, exec, s[10:11]
.LBB69_7:
	s_or_b64 exec, exec, s[8:9]
	v_cmp_lt_u32_e64 s[22:23], 1, v0
	v_add_u32_e32 v22, -16, v19
	s_barrier
	ds_write_b128 v20, v[5:8]
	s_waitcnt lgkmcnt(0)
	s_barrier
	s_and_saveexec_b64 s[8:9], s[22:23]
	s_cbranch_execz .LBB69_11
; %bb.8:
	ds_read_b64 v[12:13], v22
	s_waitcnt lgkmcnt(0)
	v_cmp_eq_u64_e32 vcc, v[9:10], v[12:13]
	s_and_saveexec_b64 s[10:11], vcc
	s_cbranch_execz .LBB69_10
; %bb.9:
	v_subrev_u32_e32 v12, 32, v20
	ds_read_b128 v[23:26], v12
	s_waitcnt lgkmcnt(0)
	v_add_f64 v[5:6], v[5:6], v[23:24]
	v_add_f64 v[7:8], v[7:8], v[25:26]
.LBB69_10:
	s_or_b64 exec, exec, s[10:11]
.LBB69_11:
	s_or_b64 exec, exec, s[8:9]
	v_cmp_lt_u32_e64 s[8:9], 3, v0
	v_subrev_u32_e32 v23, 32, v19
	s_barrier
	ds_write_b128 v20, v[5:8]
	s_waitcnt lgkmcnt(0)
	s_barrier
	s_and_saveexec_b64 s[10:11], s[8:9]
	s_cbranch_execz .LBB69_15
; %bb.12:
	ds_read_b64 v[12:13], v23
	s_waitcnt lgkmcnt(0)
	v_cmp_eq_u64_e32 vcc, v[9:10], v[12:13]
	s_and_saveexec_b64 s[12:13], vcc
	s_cbranch_execz .LBB69_14
; %bb.13:
	v_subrev_u32_e32 v12, 64, v20
	ds_read_b128 v[24:27], v12
	s_waitcnt lgkmcnt(0)
	v_add_f64 v[5:6], v[5:6], v[24:25]
	v_add_f64 v[7:8], v[7:8], v[26:27]
.LBB69_14:
	s_or_b64 exec, exec, s[12:13]
.LBB69_15:
	s_or_b64 exec, exec, s[10:11]
	v_cmp_lt_u32_e64 s[10:11], 7, v0
	v_subrev_u32_e32 v24, 64, v19
	s_barrier
	ds_write_b128 v20, v[5:8]
	s_waitcnt lgkmcnt(0)
	s_barrier
	s_and_saveexec_b64 s[12:13], s[10:11]
	s_cbranch_execz .LBB69_19
; %bb.16:
	ds_read_b64 v[12:13], v24
	s_waitcnt lgkmcnt(0)
	v_cmp_eq_u64_e32 vcc, v[9:10], v[12:13]
	s_and_saveexec_b64 s[14:15], vcc
	s_cbranch_execz .LBB69_18
; %bb.17:
	v_add_u32_e32 v12, 0xffffff80, v20
	ds_read_b128 v[25:28], v12
	s_waitcnt lgkmcnt(0)
	v_add_f64 v[5:6], v[5:6], v[25:26]
	v_add_f64 v[7:8], v[7:8], v[27:28]
.LBB69_18:
	s_or_b64 exec, exec, s[14:15]
.LBB69_19:
	s_or_b64 exec, exec, s[12:13]
	v_cmp_lt_u32_e64 s[12:13], 15, v0
	s_barrier
	ds_write_b128 v20, v[5:8]
	s_waitcnt lgkmcnt(0)
	s_barrier
	s_and_saveexec_b64 s[14:15], s[12:13]
	s_cbranch_execz .LBB69_23
; %bb.20:
	v_add_u32_e32 v12, 0xffffff80, v19
	ds_read_b64 v[12:13], v12
	s_waitcnt lgkmcnt(0)
	v_cmp_eq_u64_e32 vcc, v[9:10], v[12:13]
	s_and_saveexec_b64 s[16:17], vcc
	s_cbranch_execz .LBB69_22
; %bb.21:
	v_add_u32_e32 v12, 0xffffff00, v20
	ds_read_b128 v[25:28], v12
	s_waitcnt lgkmcnt(0)
	v_add_f64 v[5:6], v[5:6], v[25:26]
	v_add_f64 v[7:8], v[7:8], v[27:28]
.LBB69_22:
	s_or_b64 exec, exec, s[16:17]
.LBB69_23:
	s_or_b64 exec, exec, s[14:15]
	v_cmp_lt_u32_e64 s[14:15], 31, v0
	s_barrier
	ds_write_b128 v20, v[5:8]
	s_waitcnt lgkmcnt(0)
	s_barrier
	s_and_saveexec_b64 s[16:17], s[14:15]
	s_cbranch_execz .LBB69_27
; %bb.24:
	v_add_u32_e32 v12, 0xffffff00, v19
	ds_read_b64 v[12:13], v12
	s_waitcnt lgkmcnt(0)
	v_cmp_eq_u64_e32 vcc, v[9:10], v[12:13]
	s_and_saveexec_b64 s[18:19], vcc
	s_cbranch_execz .LBB69_26
; %bb.25:
	v_add_u32_e32 v12, 0xfffffe00, v20
	ds_read_b128 v[25:28], v12
	s_waitcnt lgkmcnt(0)
	v_add_f64 v[5:6], v[5:6], v[25:26]
	v_add_f64 v[7:8], v[7:8], v[27:28]
.LBB69_26:
	s_or_b64 exec, exec, s[18:19]
.LBB69_27:
	;; [unrolled: 24-line block ×3, first 2 shown]
	s_or_b64 exec, exec, s[18:19]
	s_load_dwordx2 s[40:41], s[4:5], 0x38
	s_movk_i32 s18, 0x7f
	v_cmp_lt_u32_e64 s[18:19], s18, v0
	s_waitcnt lgkmcnt(0)
	s_barrier
	ds_write_b128 v20, v[5:8]
	s_waitcnt lgkmcnt(0)
	s_barrier
	s_and_saveexec_b64 s[20:21], s[18:19]
	s_cbranch_execz .LBB69_35
; %bb.32:
	v_add_u32_e32 v12, 0xfffffc00, v19
	ds_read_b64 v[12:13], v12
	s_waitcnt lgkmcnt(0)
	v_cmp_eq_u64_e32 vcc, v[9:10], v[12:13]
	s_and_saveexec_b64 s[24:25], vcc
	s_cbranch_execz .LBB69_34
; %bb.33:
	v_add_u32_e32 v12, 0xfffff800, v20
	ds_read_b128 v[25:28], v12
	s_waitcnt lgkmcnt(0)
	v_add_f64 v[5:6], v[5:6], v[25:26]
	v_add_f64 v[7:8], v[7:8], v[27:28]
.LBB69_34:
	s_or_b64 exec, exec, s[24:25]
.LBB69_35:
	s_or_b64 exec, exec, s[20:21]
	s_movk_i32 s20, 0xff
	v_cmp_gt_u32_e64 s[20:21], s20, v0
	s_barrier
	ds_write_b128 v20, v[5:8]
	s_waitcnt lgkmcnt(0)
	s_barrier
	s_and_saveexec_b64 s[26:27], s[20:21]
	s_cbranch_execz .LBB69_38
; %bb.36:
	ds_read_b64 v[12:13], v19 offset:8
	v_cmp_lt_i64_e64 s[24:25], -1, v[9:10]
	s_waitcnt lgkmcnt(0)
	v_cmp_ne_u64_e32 vcc, v[9:10], v[12:13]
	s_and_b64 s[24:25], s[24:25], vcc
	s_and_b64 exec, exec, s[24:25]
	s_cbranch_execz .LBB69_38
; %bb.37:
	v_lshlrev_b64 v[12:13], 4, v[9:10]
	v_mov_b32_e32 v14, s41
	v_add_co_u32_e32 v12, vcc, s40, v12
	v_addc_co_u32_e32 v13, vcc, v14, v13, vcc
	global_load_dwordx4 v[25:28], v[12:13], off
	s_waitcnt vmcnt(0)
	v_fma_f64 v[17:18], v[1:2], v[5:6], v[25:26]
	v_fma_f64 v[27:28], v[3:4], v[5:6], v[27:28]
	v_fma_f64 v[25:26], -v[3:4], v[7:8], v[17:18]
	v_fma_f64 v[27:28], v[1:2], v[7:8], v[27:28]
	global_store_dwordx4 v[12:13], v[25:28], off
.LBB69_38:
	s_or_b64 exec, exec, s[26:27]
	s_load_dwordx4 s[24:27], s[4:5], 0x40
	v_cmp_lt_i64_e64 s[4:5], s[30:31], 2
	s_and_b64 vcc, exec, s[4:5]
	s_cbranch_vccnz .LBB69_85
; %bb.39:
	s_add_u32 s42, s30, -1
	s_addc_u32 s43, s31, -1
	s_ashr_i32 s35, s34, 31
	s_lshl_b64 s[4:5], s[34:35], 4
	s_sub_u32 s33, s44, s4
	s_subb_u32 s35, s45, s5
	s_mul_i32 s4, s31, s6
	s_mul_hi_u32 s5, s30, s6
	s_add_i32 s5, s5, s4
	s_mul_i32 s4, s30, s6
	s_lshl_b64 s[30:31], s[4:5], 11
	s_add_u32 s30, s38, s30
	s_addc_u32 s31, s39, s31
	v_mov_b32_e32 v5, s31
	v_add_co_u32_e32 v6, vcc, s30, v11
	v_addc_co_u32_e32 v5, vcc, 0, v5, vcc
	s_movk_i32 s30, 0x800
	s_lshl_b64 s[4:5], s[4:5], 12
	v_add_co_u32_e32 v11, vcc, s30, v6
	s_add_u32 s4, s36, s4
	v_addc_co_u32_e32 v12, vcc, 0, v5, vcc
	s_addc_u32 s5, s37, s5
	v_mov_b32_e32 v5, s5
	v_add_co_u32_e32 v6, vcc, s4, v20
	v_addc_co_u32_e32 v5, vcc, 0, v5, vcc
	s_movk_i32 s4, 0x1008
	v_add_co_u32_e32 v13, vcc, s4, v6
	v_addc_co_u32_e32 v14, vcc, 0, v5, vcc
	s_movk_i32 s4, 0x100
	v_add_co_u32_e32 v15, vcc, s4, v15
	s_mov_b32 s30, 0
	v_add_u32_e32 v25, 0xfffffe00, v19
	v_add_u32_e32 v26, 0xfffffc00, v20
	;; [unrolled: 1-line block ×4, first 2 shown]
	v_mov_b32_e32 v29, 0
	v_addc_co_u32_e32 v16, vcc, 0, v16, vcc
	s_brev_b32 s31, 1
	s_mov_b64 s[36:37], 0
	s_branch .LBB69_41
.LBB69_40:                              ;   in Loop: Header=BB69_41 Depth=1
	s_or_b64 exec, exec, s[38:39]
	v_add_co_u32_e32 v11, vcc, 0x800, v11
	v_addc_co_u32_e32 v12, vcc, 0, v12, vcc
	s_add_u32 s36, s36, 1
	v_add_co_u32_e32 v13, vcc, 0x1000, v13
	s_addc_u32 s37, s37, 0
	v_mov_b32_e32 v17, s36
	v_addc_co_u32_e32 v14, vcc, 0, v14, vcc
	v_mov_b32_e32 v18, s37
	v_add_co_u32_e32 v15, vcc, 0x100, v15
	v_cmp_le_u64_e64 s[4:5], s[42:43], v[17:18]
	v_addc_co_u32_e32 v16, vcc, 0, v16, vcc
	s_and_b64 vcc, exec, s[4:5]
	s_cbranch_vccnz .LBB69_85
.LBB69_41:                              ; =>This Inner Loop Header: Depth=1
	v_cmp_gt_i64_e32 vcc, s[28:29], v[15:16]
	v_mov_b32_e32 v9, -1
	v_mov_b32_e32 v5, 0
	v_mov_b32_e32 v7, 0
	v_mov_b32_e32 v10, -1
	v_mov_b32_e32 v6, 0
	v_mov_b32_e32 v8, 0
	s_and_saveexec_b64 s[4:5], vcc
	s_cbranch_execz .LBB69_43
; %bb.42:                               ;   in Loop: Header=BB69_41 Depth=1
	global_load_dwordx4 v[30:33], v[13:14], off offset:-8 glc slc
	v_mov_b32_e32 v7, s35
	s_waitcnt vmcnt(0)
	v_lshlrev_b64 v[5:6], 4, v[32:33]
	v_add_co_u32_e32 v5, vcc, s33, v5
	v_addc_co_u32_e32 v6, vcc, v7, v6, vcc
	global_load_dwordx4 v[7:10], v[5:6], off
	global_load_dwordx2 v[17:18], v[11:12], off glc slc
	s_waitcnt vmcnt(1)
	v_mul_f64 v[5:6], v[9:10], s[30:31]
	s_waitcnt vmcnt(0)
	v_mul_f64 v[9:10], v[17:18], v[9:10]
	v_fma_f64 v[5:6], v[17:18], v[7:8], v[5:6]
	v_fma_f64 v[7:8], v[7:8], 0, v[9:10]
	v_subrev_co_u32_e32 v9, vcc, s34, v30
	v_subbrev_co_u32_e32 v10, vcc, 0, v31, vcc
.LBB69_43:                              ;   in Loop: Header=BB69_41 Depth=1
	s_or_b64 exec, exec, s[4:5]
	s_and_saveexec_b64 s[4:5], s[0:1]
	s_cbranch_execz .LBB69_50
; %bb.44:                               ;   in Loop: Header=BB69_41 Depth=1
	ds_read_b64 v[17:18], v29 offset:6136
	s_waitcnt lgkmcnt(0)
	v_cmp_ne_u64_e32 vcc, v[9:10], v[17:18]
	s_and_saveexec_b64 s[38:39], vcc
	s_xor_b64 s[38:39], exec, s[38:39]
	s_cbranch_execz .LBB69_47
; %bb.45:                               ;   in Loop: Header=BB69_41 Depth=1
	v_cmp_gt_i64_e32 vcc, 0, v[17:18]
	s_cbranch_vccnz .LBB69_47
; %bb.46:                               ;   in Loop: Header=BB69_41 Depth=1
	v_lshlrev_b64 v[17:18], 4, v[17:18]
	v_mov_b32_e32 v30, s41
	v_add_co_u32_e32 v17, vcc, s40, v17
	v_addc_co_u32_e32 v18, vcc, v30, v18, vcc
	global_load_dwordx4 v[30:33], v[17:18], off
	ds_read_b128 v[34:37], v29 offset:4080
	s_waitcnt vmcnt(0) lgkmcnt(0)
	v_fma_f64 v[30:31], v[1:2], v[34:35], v[30:31]
	v_fma_f64 v[32:33], v[3:4], v[34:35], v[32:33]
	v_fma_f64 v[30:31], -v[3:4], v[36:37], v[30:31]
	v_fma_f64 v[32:33], v[1:2], v[36:37], v[32:33]
	global_store_dwordx4 v[17:18], v[30:33], off
.LBB69_47:                              ;   in Loop: Header=BB69_41 Depth=1
	s_andn2_saveexec_b64 s[38:39], s[38:39]
	s_cbranch_execz .LBB69_49
; %bb.48:                               ;   in Loop: Header=BB69_41 Depth=1
	ds_read_b128 v[30:33], v29 offset:4080
	s_waitcnt lgkmcnt(0)
	v_add_f64 v[5:6], v[5:6], v[30:31]
	v_add_f64 v[7:8], v[7:8], v[32:33]
.LBB69_49:                              ;   in Loop: Header=BB69_41 Depth=1
	s_or_b64 exec, exec, s[38:39]
.LBB69_50:                              ;   in Loop: Header=BB69_41 Depth=1
	s_or_b64 exec, exec, s[4:5]
	s_waitcnt vmcnt(0) lgkmcnt(0)
	s_barrier
	ds_write_b64 v19, v[9:10]
	ds_write_b128 v20, v[5:8]
	s_waitcnt lgkmcnt(0)
	s_barrier
	s_and_saveexec_b64 s[4:5], s[2:3]
	s_cbranch_execz .LBB69_54
; %bb.51:                               ;   in Loop: Header=BB69_41 Depth=1
	ds_read_b64 v[17:18], v21
	s_waitcnt lgkmcnt(0)
	v_cmp_eq_u64_e32 vcc, v[9:10], v[17:18]
	s_and_saveexec_b64 s[38:39], vcc
	s_cbranch_execz .LBB69_53
; %bb.52:                               ;   in Loop: Header=BB69_41 Depth=1
	v_add_u32_e32 v17, -16, v20
	ds_read_b128 v[30:33], v17
	s_waitcnt lgkmcnt(0)
	v_add_f64 v[5:6], v[5:6], v[30:31]
	v_add_f64 v[7:8], v[7:8], v[32:33]
.LBB69_53:                              ;   in Loop: Header=BB69_41 Depth=1
	s_or_b64 exec, exec, s[38:39]
.LBB69_54:                              ;   in Loop: Header=BB69_41 Depth=1
	s_or_b64 exec, exec, s[4:5]
	s_barrier
	ds_write_b128 v20, v[5:8]
	s_waitcnt lgkmcnt(0)
	s_barrier
	s_and_saveexec_b64 s[4:5], s[22:23]
	s_cbranch_execz .LBB69_58
; %bb.55:                               ;   in Loop: Header=BB69_41 Depth=1
	ds_read_b64 v[17:18], v22
	s_waitcnt lgkmcnt(0)
	v_cmp_eq_u64_e32 vcc, v[9:10], v[17:18]
	s_and_saveexec_b64 s[38:39], vcc
	s_cbranch_execz .LBB69_57
; %bb.56:                               ;   in Loop: Header=BB69_41 Depth=1
	v_subrev_u32_e32 v17, 32, v20
	ds_read_b128 v[30:33], v17
	s_waitcnt lgkmcnt(0)
	v_add_f64 v[5:6], v[5:6], v[30:31]
	v_add_f64 v[7:8], v[7:8], v[32:33]
.LBB69_57:                              ;   in Loop: Header=BB69_41 Depth=1
	s_or_b64 exec, exec, s[38:39]
.LBB69_58:                              ;   in Loop: Header=BB69_41 Depth=1
	s_or_b64 exec, exec, s[4:5]
	s_barrier
	ds_write_b128 v20, v[5:8]
	s_waitcnt lgkmcnt(0)
	s_barrier
	s_and_saveexec_b64 s[4:5], s[8:9]
	s_cbranch_execz .LBB69_62
; %bb.59:                               ;   in Loop: Header=BB69_41 Depth=1
	ds_read_b64 v[17:18], v23
	s_waitcnt lgkmcnt(0)
	v_cmp_eq_u64_e32 vcc, v[9:10], v[17:18]
	s_and_saveexec_b64 s[38:39], vcc
	s_cbranch_execz .LBB69_61
; %bb.60:                               ;   in Loop: Header=BB69_41 Depth=1
	v_subrev_u32_e32 v17, 64, v20
	ds_read_b128 v[30:33], v17
	s_waitcnt lgkmcnt(0)
	v_add_f64 v[5:6], v[5:6], v[30:31]
	v_add_f64 v[7:8], v[7:8], v[32:33]
.LBB69_61:                              ;   in Loop: Header=BB69_41 Depth=1
	s_or_b64 exec, exec, s[38:39]
.LBB69_62:                              ;   in Loop: Header=BB69_41 Depth=1
	s_or_b64 exec, exec, s[4:5]
	s_barrier
	ds_write_b128 v20, v[5:8]
	s_waitcnt lgkmcnt(0)
	s_barrier
	s_and_saveexec_b64 s[4:5], s[10:11]
	s_cbranch_execz .LBB69_66
; %bb.63:                               ;   in Loop: Header=BB69_41 Depth=1
	ds_read_b64 v[17:18], v24
	s_waitcnt lgkmcnt(0)
	v_cmp_eq_u64_e32 vcc, v[9:10], v[17:18]
	s_and_saveexec_b64 s[38:39], vcc
	s_cbranch_execz .LBB69_65
; %bb.64:                               ;   in Loop: Header=BB69_41 Depth=1
	v_add_u32_e32 v17, 0xffffff80, v20
	ds_read_b128 v[30:33], v17
	s_waitcnt lgkmcnt(0)
	v_add_f64 v[5:6], v[5:6], v[30:31]
	v_add_f64 v[7:8], v[7:8], v[32:33]
.LBB69_65:                              ;   in Loop: Header=BB69_41 Depth=1
	s_or_b64 exec, exec, s[38:39]
.LBB69_66:                              ;   in Loop: Header=BB69_41 Depth=1
	s_or_b64 exec, exec, s[4:5]
	s_barrier
	ds_write_b128 v20, v[5:8]
	s_waitcnt lgkmcnt(0)
	s_barrier
	s_and_saveexec_b64 s[4:5], s[12:13]
	s_cbranch_execz .LBB69_70
; %bb.67:                               ;   in Loop: Header=BB69_41 Depth=1
	v_add_u32_e32 v17, 0xffffff80, v19
	ds_read_b64 v[17:18], v17
	s_waitcnt lgkmcnt(0)
	v_cmp_eq_u64_e32 vcc, v[9:10], v[17:18]
	s_and_saveexec_b64 s[38:39], vcc
	s_cbranch_execz .LBB69_69
; %bb.68:                               ;   in Loop: Header=BB69_41 Depth=1
	v_add_u32_e32 v17, 0xffffff00, v20
	ds_read_b128 v[30:33], v17
	s_waitcnt lgkmcnt(0)
	v_add_f64 v[5:6], v[5:6], v[30:31]
	v_add_f64 v[7:8], v[7:8], v[32:33]
.LBB69_69:                              ;   in Loop: Header=BB69_41 Depth=1
	s_or_b64 exec, exec, s[38:39]
.LBB69_70:                              ;   in Loop: Header=BB69_41 Depth=1
	s_or_b64 exec, exec, s[4:5]
	s_barrier
	ds_write_b128 v20, v[5:8]
	s_waitcnt lgkmcnt(0)
	s_barrier
	s_and_saveexec_b64 s[4:5], s[14:15]
	s_cbranch_execz .LBB69_74
; %bb.71:                               ;   in Loop: Header=BB69_41 Depth=1
	v_add_u32_e32 v17, 0xffffff00, v19
	ds_read_b64 v[17:18], v17
	s_waitcnt lgkmcnt(0)
	v_cmp_eq_u64_e32 vcc, v[9:10], v[17:18]
	s_and_saveexec_b64 s[38:39], vcc
	s_cbranch_execz .LBB69_73
; %bb.72:                               ;   in Loop: Header=BB69_41 Depth=1
	v_add_u32_e32 v17, 0xfffffe00, v20
	ds_read_b128 v[30:33], v17
	s_waitcnt lgkmcnt(0)
	v_add_f64 v[5:6], v[5:6], v[30:31]
	v_add_f64 v[7:8], v[7:8], v[32:33]
.LBB69_73:                              ;   in Loop: Header=BB69_41 Depth=1
	s_or_b64 exec, exec, s[38:39]
.LBB69_74:                              ;   in Loop: Header=BB69_41 Depth=1
	s_or_b64 exec, exec, s[4:5]
	s_barrier
	ds_write_b128 v20, v[5:8]
	s_waitcnt lgkmcnt(0)
	s_barrier
	s_and_saveexec_b64 s[4:5], s[16:17]
	s_cbranch_execz .LBB69_78
; %bb.75:                               ;   in Loop: Header=BB69_41 Depth=1
	ds_read_b64 v[17:18], v25
	s_waitcnt lgkmcnt(0)
	v_cmp_eq_u64_e32 vcc, v[9:10], v[17:18]
	s_and_saveexec_b64 s[38:39], vcc
	s_cbranch_execz .LBB69_77
; %bb.76:                               ;   in Loop: Header=BB69_41 Depth=1
	ds_read_b128 v[30:33], v26
	s_waitcnt lgkmcnt(0)
	v_add_f64 v[5:6], v[5:6], v[30:31]
	v_add_f64 v[7:8], v[7:8], v[32:33]
.LBB69_77:                              ;   in Loop: Header=BB69_41 Depth=1
	s_or_b64 exec, exec, s[38:39]
.LBB69_78:                              ;   in Loop: Header=BB69_41 Depth=1
	s_or_b64 exec, exec, s[4:5]
	s_barrier
	ds_write_b128 v20, v[5:8]
	s_waitcnt lgkmcnt(0)
	s_barrier
	s_and_saveexec_b64 s[4:5], s[18:19]
	s_cbranch_execz .LBB69_82
; %bb.79:                               ;   in Loop: Header=BB69_41 Depth=1
	ds_read_b64 v[17:18], v27
	s_waitcnt lgkmcnt(0)
	v_cmp_eq_u64_e32 vcc, v[9:10], v[17:18]
	s_and_saveexec_b64 s[38:39], vcc
	s_cbranch_execz .LBB69_81
; %bb.80:                               ;   in Loop: Header=BB69_41 Depth=1
	ds_read_b128 v[30:33], v28
	s_waitcnt lgkmcnt(0)
	v_add_f64 v[5:6], v[5:6], v[30:31]
	v_add_f64 v[7:8], v[7:8], v[32:33]
.LBB69_81:                              ;   in Loop: Header=BB69_41 Depth=1
	s_or_b64 exec, exec, s[38:39]
.LBB69_82:                              ;   in Loop: Header=BB69_41 Depth=1
	s_or_b64 exec, exec, s[4:5]
	s_barrier
	ds_write_b128 v20, v[5:8]
	s_waitcnt lgkmcnt(0)
	s_barrier
	s_and_saveexec_b64 s[38:39], s[20:21]
	s_cbranch_execz .LBB69_40
; %bb.83:                               ;   in Loop: Header=BB69_41 Depth=1
	ds_read_b64 v[17:18], v19 offset:8
	v_cmp_lt_i64_e64 s[4:5], -1, v[9:10]
	s_waitcnt lgkmcnt(0)
	v_cmp_ne_u64_e32 vcc, v[9:10], v[17:18]
	s_and_b64 s[4:5], s[4:5], vcc
	s_and_b64 exec, exec, s[4:5]
	s_cbranch_execz .LBB69_40
; %bb.84:                               ;   in Loop: Header=BB69_41 Depth=1
	v_lshlrev_b64 v[17:18], 4, v[9:10]
	v_mov_b32_e32 v30, s41
	v_add_co_u32_e32 v17, vcc, s40, v17
	v_addc_co_u32_e32 v18, vcc, v30, v18, vcc
	global_load_dwordx4 v[30:33], v[17:18], off
	s_waitcnt vmcnt(0)
	v_fma_f64 v[30:31], v[1:2], v[5:6], v[30:31]
	v_fma_f64 v[32:33], v[3:4], v[5:6], v[32:33]
	v_fma_f64 v[30:31], -v[3:4], v[7:8], v[30:31]
	v_fma_f64 v[32:33], v[1:2], v[7:8], v[32:33]
	global_store_dwordx4 v[17:18], v[30:33], off
	s_branch .LBB69_40
.LBB69_85:
	s_movk_i32 s0, 0xff
	v_cmp_eq_u32_e32 vcc, s0, v0
	s_and_b64 exec, exec, vcc
	s_cbranch_execz .LBB69_87
; %bb.86:
	v_mul_f64 v[11:12], v[7:8], -v[3:4]
	v_mul_f64 v[7:8], v[1:2], v[7:8]
	s_lshl_b64 s[0:1], s[6:7], 3
	s_waitcnt lgkmcnt(0)
	s_add_u32 s0, s24, s0
	s_addc_u32 s1, s25, s1
	v_fma_f64 v[0:1], v[1:2], v[5:6], v[11:12]
	v_fma_f64 v[2:3], v[3:4], v[5:6], v[7:8]
	v_mov_b32_e32 v4, 0
	global_store_dwordx2 v4, v[9:10], s[0:1] glc slc
	s_lshl_b64 s[0:1], s[6:7], 4
	s_add_u32 s0, s26, s0
	s_addc_u32 s1, s27, s1
	global_store_dwordx4 v4, v[0:3], s[0:1] glc slc
.LBB69_87:
	s_endpgm
	.section	.rodata,"a",@progbits
	.p2align	6, 0x0
	.amdhsa_kernel _ZN9rocsparseL26coomvn_aos_segmented_loopsILj256Eld21rocsparse_complex_numIdES2_S2_EEvlT0_NS_24const_host_device_scalarIT4_EEPKS3_PKT1_PKT2_PT3_PS3_PS5_21rocsparse_index_base_b
		.amdhsa_group_segment_fixed_size 6144
		.amdhsa_private_segment_fixed_size 0
		.amdhsa_kernarg_size 88
		.amdhsa_user_sgpr_count 6
		.amdhsa_user_sgpr_private_segment_buffer 1
		.amdhsa_user_sgpr_dispatch_ptr 0
		.amdhsa_user_sgpr_queue_ptr 0
		.amdhsa_user_sgpr_kernarg_segment_ptr 1
		.amdhsa_user_sgpr_dispatch_id 0
		.amdhsa_user_sgpr_flat_scratch_init 0
		.amdhsa_user_sgpr_private_segment_size 0
		.amdhsa_uses_dynamic_stack 0
		.amdhsa_system_sgpr_private_segment_wavefront_offset 0
		.amdhsa_system_sgpr_workgroup_id_x 1
		.amdhsa_system_sgpr_workgroup_id_y 0
		.amdhsa_system_sgpr_workgroup_id_z 0
		.amdhsa_system_sgpr_workgroup_info 0
		.amdhsa_system_vgpr_workitem_id 0
		.amdhsa_next_free_vgpr 38
		.amdhsa_next_free_sgpr 46
		.amdhsa_reserve_vcc 1
		.amdhsa_reserve_flat_scratch 0
		.amdhsa_float_round_mode_32 0
		.amdhsa_float_round_mode_16_64 0
		.amdhsa_float_denorm_mode_32 3
		.amdhsa_float_denorm_mode_16_64 3
		.amdhsa_dx10_clamp 1
		.amdhsa_ieee_mode 1
		.amdhsa_fp16_overflow 0
		.amdhsa_exception_fp_ieee_invalid_op 0
		.amdhsa_exception_fp_denorm_src 0
		.amdhsa_exception_fp_ieee_div_zero 0
		.amdhsa_exception_fp_ieee_overflow 0
		.amdhsa_exception_fp_ieee_underflow 0
		.amdhsa_exception_fp_ieee_inexact 0
		.amdhsa_exception_int_div_zero 0
	.end_amdhsa_kernel
	.section	.text._ZN9rocsparseL26coomvn_aos_segmented_loopsILj256Eld21rocsparse_complex_numIdES2_S2_EEvlT0_NS_24const_host_device_scalarIT4_EEPKS3_PKT1_PKT2_PT3_PS3_PS5_21rocsparse_index_base_b,"axG",@progbits,_ZN9rocsparseL26coomvn_aos_segmented_loopsILj256Eld21rocsparse_complex_numIdES2_S2_EEvlT0_NS_24const_host_device_scalarIT4_EEPKS3_PKT1_PKT2_PT3_PS3_PS5_21rocsparse_index_base_b,comdat
.Lfunc_end69:
	.size	_ZN9rocsparseL26coomvn_aos_segmented_loopsILj256Eld21rocsparse_complex_numIdES2_S2_EEvlT0_NS_24const_host_device_scalarIT4_EEPKS3_PKT1_PKT2_PT3_PS3_PS5_21rocsparse_index_base_b, .Lfunc_end69-_ZN9rocsparseL26coomvn_aos_segmented_loopsILj256Eld21rocsparse_complex_numIdES2_S2_EEvlT0_NS_24const_host_device_scalarIT4_EEPKS3_PKT1_PKT2_PT3_PS3_PS5_21rocsparse_index_base_b
                                        ; -- End function
	.set _ZN9rocsparseL26coomvn_aos_segmented_loopsILj256Eld21rocsparse_complex_numIdES2_S2_EEvlT0_NS_24const_host_device_scalarIT4_EEPKS3_PKT1_PKT2_PT3_PS3_PS5_21rocsparse_index_base_b.num_vgpr, 38
	.set _ZN9rocsparseL26coomvn_aos_segmented_loopsILj256Eld21rocsparse_complex_numIdES2_S2_EEvlT0_NS_24const_host_device_scalarIT4_EEPKS3_PKT1_PKT2_PT3_PS3_PS5_21rocsparse_index_base_b.num_agpr, 0
	.set _ZN9rocsparseL26coomvn_aos_segmented_loopsILj256Eld21rocsparse_complex_numIdES2_S2_EEvlT0_NS_24const_host_device_scalarIT4_EEPKS3_PKT1_PKT2_PT3_PS3_PS5_21rocsparse_index_base_b.numbered_sgpr, 46
	.set _ZN9rocsparseL26coomvn_aos_segmented_loopsILj256Eld21rocsparse_complex_numIdES2_S2_EEvlT0_NS_24const_host_device_scalarIT4_EEPKS3_PKT1_PKT2_PT3_PS3_PS5_21rocsparse_index_base_b.num_named_barrier, 0
	.set _ZN9rocsparseL26coomvn_aos_segmented_loopsILj256Eld21rocsparse_complex_numIdES2_S2_EEvlT0_NS_24const_host_device_scalarIT4_EEPKS3_PKT1_PKT2_PT3_PS3_PS5_21rocsparse_index_base_b.private_seg_size, 0
	.set _ZN9rocsparseL26coomvn_aos_segmented_loopsILj256Eld21rocsparse_complex_numIdES2_S2_EEvlT0_NS_24const_host_device_scalarIT4_EEPKS3_PKT1_PKT2_PT3_PS3_PS5_21rocsparse_index_base_b.uses_vcc, 1
	.set _ZN9rocsparseL26coomvn_aos_segmented_loopsILj256Eld21rocsparse_complex_numIdES2_S2_EEvlT0_NS_24const_host_device_scalarIT4_EEPKS3_PKT1_PKT2_PT3_PS3_PS5_21rocsparse_index_base_b.uses_flat_scratch, 0
	.set _ZN9rocsparseL26coomvn_aos_segmented_loopsILj256Eld21rocsparse_complex_numIdES2_S2_EEvlT0_NS_24const_host_device_scalarIT4_EEPKS3_PKT1_PKT2_PT3_PS3_PS5_21rocsparse_index_base_b.has_dyn_sized_stack, 0
	.set _ZN9rocsparseL26coomvn_aos_segmented_loopsILj256Eld21rocsparse_complex_numIdES2_S2_EEvlT0_NS_24const_host_device_scalarIT4_EEPKS3_PKT1_PKT2_PT3_PS3_PS5_21rocsparse_index_base_b.has_recursion, 0
	.set _ZN9rocsparseL26coomvn_aos_segmented_loopsILj256Eld21rocsparse_complex_numIdES2_S2_EEvlT0_NS_24const_host_device_scalarIT4_EEPKS3_PKT1_PKT2_PT3_PS3_PS5_21rocsparse_index_base_b.has_indirect_call, 0
	.section	.AMDGPU.csdata,"",@progbits
; Kernel info:
; codeLenInByte = 2996
; TotalNumSgprs: 50
; NumVgprs: 38
; ScratchSize: 0
; MemoryBound: 1
; FloatMode: 240
; IeeeMode: 1
; LDSByteSize: 6144 bytes/workgroup (compile time only)
; SGPRBlocks: 6
; VGPRBlocks: 9
; NumSGPRsForWavesPerEU: 50
; NumVGPRsForWavesPerEU: 38
; Occupancy: 6
; WaveLimiterHint : 1
; COMPUTE_PGM_RSRC2:SCRATCH_EN: 0
; COMPUTE_PGM_RSRC2:USER_SGPR: 6
; COMPUTE_PGM_RSRC2:TRAP_HANDLER: 0
; COMPUTE_PGM_RSRC2:TGID_X_EN: 1
; COMPUTE_PGM_RSRC2:TGID_Y_EN: 0
; COMPUTE_PGM_RSRC2:TGID_Z_EN: 0
; COMPUTE_PGM_RSRC2:TIDIG_COMP_CNT: 0
	.section	.text._ZN9rocsparseL23coomvn_aos_atomic_loopsILj256ELj1EifdddEEvlNS_24const_host_device_scalarIT5_EEPKT1_PKT2_PKT3_PT4_21rocsparse_index_base_b,"axG",@progbits,_ZN9rocsparseL23coomvn_aos_atomic_loopsILj256ELj1EifdddEEvlNS_24const_host_device_scalarIT5_EEPKT1_PKT2_PKT3_PT4_21rocsparse_index_base_b,comdat
	.globl	_ZN9rocsparseL23coomvn_aos_atomic_loopsILj256ELj1EifdddEEvlNS_24const_host_device_scalarIT5_EEPKT1_PKT2_PKT3_PT4_21rocsparse_index_base_b ; -- Begin function _ZN9rocsparseL23coomvn_aos_atomic_loopsILj256ELj1EifdddEEvlNS_24const_host_device_scalarIT5_EEPKT1_PKT2_PKT3_PT4_21rocsparse_index_base_b
	.p2align	8
	.type	_ZN9rocsparseL23coomvn_aos_atomic_loopsILj256ELj1EifdddEEvlNS_24const_host_device_scalarIT5_EEPKT1_PKT2_PKT3_PT4_21rocsparse_index_base_b,@function
_ZN9rocsparseL23coomvn_aos_atomic_loopsILj256ELj1EifdddEEvlNS_24const_host_device_scalarIT5_EEPKT1_PKT2_PKT3_PT4_21rocsparse_index_base_b: ; @_ZN9rocsparseL23coomvn_aos_atomic_loopsILj256ELj1EifdddEEvlNS_24const_host_device_scalarIT5_EEPKT1_PKT2_PKT3_PT4_21rocsparse_index_base_b
; %bb.0:
	s_load_dwordx2 s[8:9], s[4:5], 0x30
	s_load_dwordx4 s[0:3], s[4:5], 0x0
	s_waitcnt lgkmcnt(0)
	s_bitcmp1_b32 s9, 0
	s_cselect_b64 s[10:11], -1, 0
	v_mov_b32_e32 v6, s3
	s_and_b64 vcc, exec, s[10:11]
	v_mov_b32_e32 v5, s2
	s_cbranch_vccnz .LBB70_2
; %bb.1:
	v_mov_b32_e32 v1, s2
	v_mov_b32_e32 v2, s3
	flat_load_dwordx2 v[5:6], v[1:2]
.LBB70_2:
	s_waitcnt vmcnt(0) lgkmcnt(0)
	v_cmp_neq_f64_e32 vcc, 0, v[5:6]
	s_and_saveexec_b64 s[2:3], vcc
	s_cbranch_execz .LBB70_44
; %bb.3:
	v_lshl_or_b32 v1, s6, 8, v0
	v_mov_b32_e32 v2, 0
	v_cmp_gt_i64_e32 vcc, s[0:1], v[1:2]
	v_mov_b32_e32 v7, 0
	v_mov_b32_e32 v8, 0
	v_mov_b32_e32 v9, -1
	s_and_saveexec_b64 s[0:1], vcc
	s_cbranch_execz .LBB70_5
; %bb.4:
	s_load_dwordx4 s[12:15], s[4:5], 0x10
	s_load_dwordx2 s[2:3], s[4:5], 0x20
	v_lshlrev_b64 v[3:4], 3, v[1:2]
	v_lshlrev_b64 v[1:2], 2, v[1:2]
	s_waitcnt lgkmcnt(0)
	v_mov_b32_e32 v7, s13
	v_add_co_u32_e32 v3, vcc, s12, v3
	v_addc_co_u32_e32 v4, vcc, v7, v4, vcc
	global_load_dwordx2 v[3:4], v[3:4], off glc slc
	v_mov_b32_e32 v7, s15
	v_add_co_u32_e32 v1, vcc, s14, v1
	v_addc_co_u32_e32 v2, vcc, v7, v2, vcc
	global_load_dword v7, v[1:2], off glc slc
	v_mov_b32_e32 v8, s3
	s_waitcnt vmcnt(1)
	v_subrev_u32_e32 v1, s8, v4
	v_ashrrev_i32_e32 v2, 31, v1
	v_lshlrev_b64 v[1:2], 3, v[1:2]
	v_subrev_u32_e32 v9, s8, v3
	v_add_co_u32_e32 v1, vcc, s2, v1
	v_addc_co_u32_e32 v2, vcc, v8, v2, vcc
	global_load_dwordx2 v[1:2], v[1:2], off
	s_waitcnt vmcnt(1)
	v_cvt_f64_f32_e32 v[7:8], v7
	s_waitcnt vmcnt(0)
	v_mul_f64 v[7:8], v[1:2], v[7:8]
.LBB70_5:
	s_or_b64 exec, exec, s[0:1]
	v_lshlrev_b32_e32 v2, 2, v0
	v_or_b32_e32 v1, 0x800, v2
	ds_write_b32 v2, v9 offset:2048
	v_lshlrev_b32_e32 v2, 3, v0
	v_cmp_ne_u32_e32 vcc, 0, v0
	ds_write_b64 v2, v[7:8]
	s_waitcnt lgkmcnt(0)
	s_barrier
	s_and_saveexec_b64 s[0:1], vcc
	s_cbranch_execz .LBB70_9
; %bb.6:
	v_add_u32_e32 v3, -4, v1
	ds_read_b32 v3, v3
	s_waitcnt lgkmcnt(0)
	v_cmp_eq_u32_e32 vcc, v9, v3
	s_and_saveexec_b64 s[2:3], vcc
	s_cbranch_execz .LBB70_8
; %bb.7:
	v_add_u32_e32 v3, -8, v2
	ds_read_b64 v[3:4], v3
	s_waitcnt lgkmcnt(0)
	v_add_f64 v[7:8], v[7:8], v[3:4]
.LBB70_8:
	s_or_b64 exec, exec, s[2:3]
.LBB70_9:
	s_or_b64 exec, exec, s[0:1]
	v_cmp_lt_u32_e32 vcc, 1, v0
	s_barrier
	ds_write_b64 v2, v[7:8]
	s_waitcnt lgkmcnt(0)
	s_barrier
	s_and_saveexec_b64 s[0:1], vcc
	s_cbranch_execz .LBB70_13
; %bb.10:
	v_add_u32_e32 v3, -8, v1
	ds_read_b32 v3, v3
	s_waitcnt lgkmcnt(0)
	v_cmp_eq_u32_e32 vcc, v9, v3
	s_and_saveexec_b64 s[2:3], vcc
	s_cbranch_execz .LBB70_12
; %bb.11:
	v_add_u32_e32 v3, -16, v2
	ds_read_b64 v[3:4], v3
	s_waitcnt lgkmcnt(0)
	v_add_f64 v[7:8], v[7:8], v[3:4]
.LBB70_12:
	s_or_b64 exec, exec, s[2:3]
.LBB70_13:
	s_or_b64 exec, exec, s[0:1]
	v_cmp_lt_u32_e32 vcc, 3, v0
	s_barrier
	ds_write_b64 v2, v[7:8]
	s_waitcnt lgkmcnt(0)
	s_barrier
	s_and_saveexec_b64 s[0:1], vcc
	s_cbranch_execz .LBB70_17
; %bb.14:
	v_add_u32_e32 v3, -16, v1
	ds_read_b32 v3, v3
	s_waitcnt lgkmcnt(0)
	v_cmp_eq_u32_e32 vcc, v9, v3
	s_and_saveexec_b64 s[2:3], vcc
	s_cbranch_execz .LBB70_16
; %bb.15:
	v_subrev_u32_e32 v3, 32, v2
	ds_read_b64 v[3:4], v3
	s_waitcnt lgkmcnt(0)
	v_add_f64 v[7:8], v[7:8], v[3:4]
.LBB70_16:
	s_or_b64 exec, exec, s[2:3]
.LBB70_17:
	s_or_b64 exec, exec, s[0:1]
	v_cmp_lt_u32_e32 vcc, 7, v0
	s_barrier
	ds_write_b64 v2, v[7:8]
	s_waitcnt lgkmcnt(0)
	s_barrier
	s_and_saveexec_b64 s[0:1], vcc
	s_cbranch_execz .LBB70_21
; %bb.18:
	v_subrev_u32_e32 v3, 32, v1
	ds_read_b32 v3, v3
	s_waitcnt lgkmcnt(0)
	v_cmp_eq_u32_e32 vcc, v9, v3
	s_and_saveexec_b64 s[2:3], vcc
	s_cbranch_execz .LBB70_20
; %bb.19:
	v_subrev_u32_e32 v3, 64, v2
	ds_read_b64 v[3:4], v3
	s_waitcnt lgkmcnt(0)
	v_add_f64 v[7:8], v[7:8], v[3:4]
.LBB70_20:
	s_or_b64 exec, exec, s[2:3]
.LBB70_21:
	s_or_b64 exec, exec, s[0:1]
	v_cmp_lt_u32_e32 vcc, 15, v0
	s_barrier
	ds_write_b64 v2, v[7:8]
	s_waitcnt lgkmcnt(0)
	s_barrier
	s_and_saveexec_b64 s[0:1], vcc
	s_cbranch_execz .LBB70_25
; %bb.22:
	v_subrev_u32_e32 v3, 64, v1
	ds_read_b32 v3, v3
	s_waitcnt lgkmcnt(0)
	v_cmp_eq_u32_e32 vcc, v9, v3
	s_and_saveexec_b64 s[2:3], vcc
	s_cbranch_execz .LBB70_24
; %bb.23:
	v_add_u32_e32 v3, 0xffffff80, v2
	ds_read_b64 v[3:4], v3
	s_waitcnt lgkmcnt(0)
	v_add_f64 v[7:8], v[7:8], v[3:4]
.LBB70_24:
	s_or_b64 exec, exec, s[2:3]
.LBB70_25:
	s_or_b64 exec, exec, s[0:1]
	v_cmp_lt_u32_e32 vcc, 31, v0
	s_barrier
	ds_write_b64 v2, v[7:8]
	s_waitcnt lgkmcnt(0)
	s_barrier
	s_and_saveexec_b64 s[0:1], vcc
	s_cbranch_execz .LBB70_29
; %bb.26:
	v_add_u32_e32 v3, 0xffffff80, v1
	ds_read_b32 v3, v3
	s_waitcnt lgkmcnt(0)
	v_cmp_eq_u32_e32 vcc, v9, v3
	s_and_saveexec_b64 s[2:3], vcc
	s_cbranch_execz .LBB70_28
; %bb.27:
	v_add_u32_e32 v3, 0xffffff00, v2
	ds_read_b64 v[3:4], v3
	s_waitcnt lgkmcnt(0)
	v_add_f64 v[7:8], v[7:8], v[3:4]
.LBB70_28:
	s_or_b64 exec, exec, s[2:3]
.LBB70_29:
	s_or_b64 exec, exec, s[0:1]
	v_cmp_lt_u32_e32 vcc, 63, v0
	s_barrier
	ds_write_b64 v2, v[7:8]
	s_waitcnt lgkmcnt(0)
	s_barrier
	s_and_saveexec_b64 s[0:1], vcc
	s_cbranch_execz .LBB70_33
; %bb.30:
	v_add_u32_e32 v3, 0xffffff00, v1
	ds_read_b32 v3, v3
	s_waitcnt lgkmcnt(0)
	v_cmp_eq_u32_e32 vcc, v9, v3
	s_and_saveexec_b64 s[2:3], vcc
	s_cbranch_execz .LBB70_32
; %bb.31:
	v_add_u32_e32 v3, 0xfffffe00, v2
	ds_read_b64 v[3:4], v3
	s_waitcnt lgkmcnt(0)
	v_add_f64 v[7:8], v[7:8], v[3:4]
.LBB70_32:
	s_or_b64 exec, exec, s[2:3]
.LBB70_33:
	s_or_b64 exec, exec, s[0:1]
	s_load_dwordx2 s[2:3], s[4:5], 0x28
	s_movk_i32 s0, 0x7f
	v_cmp_lt_u32_e32 vcc, s0, v0
	s_waitcnt lgkmcnt(0)
	s_barrier
	ds_write_b64 v2, v[7:8]
	s_waitcnt lgkmcnt(0)
	s_barrier
	s_and_saveexec_b64 s[0:1], vcc
	s_cbranch_execz .LBB70_37
; %bb.34:
	v_add_u32_e32 v3, 0xfffffe00, v1
	ds_read_b32 v3, v3
	s_waitcnt lgkmcnt(0)
	v_cmp_eq_u32_e32 vcc, v9, v3
	s_and_saveexec_b64 s[4:5], vcc
	s_cbranch_execz .LBB70_36
; %bb.35:
	v_add_u32_e32 v3, 0xfffffc00, v2
	ds_read_b64 v[3:4], v3
	s_waitcnt lgkmcnt(0)
	v_add_f64 v[7:8], v[7:8], v[3:4]
.LBB70_36:
	s_or_b64 exec, exec, s[4:5]
.LBB70_37:
	s_or_b64 exec, exec, s[0:1]
	s_movk_i32 s6, 0xff
	v_cmp_gt_u32_e32 vcc, s6, v0
	s_barrier
	ds_write_b64 v2, v[7:8]
	s_waitcnt lgkmcnt(0)
	s_barrier
	s_and_saveexec_b64 s[4:5], vcc
	s_cbranch_execz .LBB70_41
; %bb.38:
	ds_read_b32 v1, v1 offset:4
	v_cmp_lt_i32_e64 s[0:1], -1, v9
	s_waitcnt lgkmcnt(0)
	v_cmp_ne_u32_e32 vcc, v9, v1
	s_and_b64 s[0:1], s[0:1], vcc
	s_and_b64 exec, exec, s[0:1]
	s_cbranch_execz .LBB70_41
; %bb.39:
	v_mov_b32_e32 v10, 0
	v_lshlrev_b64 v[1:2], 3, v[9:10]
	v_mov_b32_e32 v3, s3
	v_add_co_u32_e32 v10, vcc, s2, v1
	v_addc_co_u32_e32 v11, vcc, v3, v2, vcc
	global_load_dwordx2 v[3:4], v[10:11], off
	v_mul_f64 v[12:13], v[5:6], v[7:8]
	s_mov_b64 s[0:1], 0
.LBB70_40:                              ; =>This Inner Loop Header: Depth=1
	s_waitcnt vmcnt(0)
	v_add_f64 v[1:2], v[3:4], v[12:13]
	global_atomic_cmpswap_x2 v[1:2], v[10:11], v[1:4], off glc
	s_waitcnt vmcnt(0)
	v_cmp_eq_u64_e32 vcc, v[1:2], v[3:4]
	v_mov_b32_e32 v4, v2
	s_or_b64 s[0:1], vcc, s[0:1]
	v_mov_b32_e32 v3, v1
	s_andn2_b64 exec, exec, s[0:1]
	s_cbranch_execnz .LBB70_40
.LBB70_41:
	s_or_b64 exec, exec, s[4:5]
	v_cmp_eq_u32_e32 vcc, s6, v0
	v_cmp_lt_i32_e64 s[0:1], -1, v9
	s_and_b64 s[0:1], vcc, s[0:1]
	s_and_b64 exec, exec, s[0:1]
	s_cbranch_execz .LBB70_44
; %bb.42:
	v_mov_b32_e32 v10, 0
	v_lshlrev_b64 v[0:1], 3, v[9:10]
	v_mov_b32_e32 v2, s3
	v_add_co_u32_e32 v9, vcc, s2, v0
	v_addc_co_u32_e32 v10, vcc, v2, v1, vcc
	global_load_dwordx2 v[2:3], v[9:10], off
	v_mul_f64 v[4:5], v[5:6], v[7:8]
	s_mov_b64 s[0:1], 0
.LBB70_43:                              ; =>This Inner Loop Header: Depth=1
	s_waitcnt vmcnt(0)
	v_add_f64 v[0:1], v[2:3], v[4:5]
	global_atomic_cmpswap_x2 v[0:1], v[9:10], v[0:3], off glc
	s_waitcnt vmcnt(0)
	v_cmp_eq_u64_e32 vcc, v[0:1], v[2:3]
	v_mov_b32_e32 v3, v1
	s_or_b64 s[0:1], vcc, s[0:1]
	v_mov_b32_e32 v2, v0
	s_andn2_b64 exec, exec, s[0:1]
	s_cbranch_execnz .LBB70_43
.LBB70_44:
	s_endpgm
	.section	.rodata,"a",@progbits
	.p2align	6, 0x0
	.amdhsa_kernel _ZN9rocsparseL23coomvn_aos_atomic_loopsILj256ELj1EifdddEEvlNS_24const_host_device_scalarIT5_EEPKT1_PKT2_PKT3_PT4_21rocsparse_index_base_b
		.amdhsa_group_segment_fixed_size 3072
		.amdhsa_private_segment_fixed_size 0
		.amdhsa_kernarg_size 56
		.amdhsa_user_sgpr_count 6
		.amdhsa_user_sgpr_private_segment_buffer 1
		.amdhsa_user_sgpr_dispatch_ptr 0
		.amdhsa_user_sgpr_queue_ptr 0
		.amdhsa_user_sgpr_kernarg_segment_ptr 1
		.amdhsa_user_sgpr_dispatch_id 0
		.amdhsa_user_sgpr_flat_scratch_init 0
		.amdhsa_user_sgpr_private_segment_size 0
		.amdhsa_uses_dynamic_stack 0
		.amdhsa_system_sgpr_private_segment_wavefront_offset 0
		.amdhsa_system_sgpr_workgroup_id_x 1
		.amdhsa_system_sgpr_workgroup_id_y 0
		.amdhsa_system_sgpr_workgroup_id_z 0
		.amdhsa_system_sgpr_workgroup_info 0
		.amdhsa_system_vgpr_workitem_id 0
		.amdhsa_next_free_vgpr 14
		.amdhsa_next_free_sgpr 16
		.amdhsa_reserve_vcc 1
		.amdhsa_reserve_flat_scratch 0
		.amdhsa_float_round_mode_32 0
		.amdhsa_float_round_mode_16_64 0
		.amdhsa_float_denorm_mode_32 3
		.amdhsa_float_denorm_mode_16_64 3
		.amdhsa_dx10_clamp 1
		.amdhsa_ieee_mode 1
		.amdhsa_fp16_overflow 0
		.amdhsa_exception_fp_ieee_invalid_op 0
		.amdhsa_exception_fp_denorm_src 0
		.amdhsa_exception_fp_ieee_div_zero 0
		.amdhsa_exception_fp_ieee_overflow 0
		.amdhsa_exception_fp_ieee_underflow 0
		.amdhsa_exception_fp_ieee_inexact 0
		.amdhsa_exception_int_div_zero 0
	.end_amdhsa_kernel
	.section	.text._ZN9rocsparseL23coomvn_aos_atomic_loopsILj256ELj1EifdddEEvlNS_24const_host_device_scalarIT5_EEPKT1_PKT2_PKT3_PT4_21rocsparse_index_base_b,"axG",@progbits,_ZN9rocsparseL23coomvn_aos_atomic_loopsILj256ELj1EifdddEEvlNS_24const_host_device_scalarIT5_EEPKT1_PKT2_PKT3_PT4_21rocsparse_index_base_b,comdat
.Lfunc_end70:
	.size	_ZN9rocsparseL23coomvn_aos_atomic_loopsILj256ELj1EifdddEEvlNS_24const_host_device_scalarIT5_EEPKT1_PKT2_PKT3_PT4_21rocsparse_index_base_b, .Lfunc_end70-_ZN9rocsparseL23coomvn_aos_atomic_loopsILj256ELj1EifdddEEvlNS_24const_host_device_scalarIT5_EEPKT1_PKT2_PKT3_PT4_21rocsparse_index_base_b
                                        ; -- End function
	.set _ZN9rocsparseL23coomvn_aos_atomic_loopsILj256ELj1EifdddEEvlNS_24const_host_device_scalarIT5_EEPKT1_PKT2_PKT3_PT4_21rocsparse_index_base_b.num_vgpr, 14
	.set _ZN9rocsparseL23coomvn_aos_atomic_loopsILj256ELj1EifdddEEvlNS_24const_host_device_scalarIT5_EEPKT1_PKT2_PKT3_PT4_21rocsparse_index_base_b.num_agpr, 0
	.set _ZN9rocsparseL23coomvn_aos_atomic_loopsILj256ELj1EifdddEEvlNS_24const_host_device_scalarIT5_EEPKT1_PKT2_PKT3_PT4_21rocsparse_index_base_b.numbered_sgpr, 16
	.set _ZN9rocsparseL23coomvn_aos_atomic_loopsILj256ELj1EifdddEEvlNS_24const_host_device_scalarIT5_EEPKT1_PKT2_PKT3_PT4_21rocsparse_index_base_b.num_named_barrier, 0
	.set _ZN9rocsparseL23coomvn_aos_atomic_loopsILj256ELj1EifdddEEvlNS_24const_host_device_scalarIT5_EEPKT1_PKT2_PKT3_PT4_21rocsparse_index_base_b.private_seg_size, 0
	.set _ZN9rocsparseL23coomvn_aos_atomic_loopsILj256ELj1EifdddEEvlNS_24const_host_device_scalarIT5_EEPKT1_PKT2_PKT3_PT4_21rocsparse_index_base_b.uses_vcc, 1
	.set _ZN9rocsparseL23coomvn_aos_atomic_loopsILj256ELj1EifdddEEvlNS_24const_host_device_scalarIT5_EEPKT1_PKT2_PKT3_PT4_21rocsparse_index_base_b.uses_flat_scratch, 0
	.set _ZN9rocsparseL23coomvn_aos_atomic_loopsILj256ELj1EifdddEEvlNS_24const_host_device_scalarIT5_EEPKT1_PKT2_PKT3_PT4_21rocsparse_index_base_b.has_dyn_sized_stack, 0
	.set _ZN9rocsparseL23coomvn_aos_atomic_loopsILj256ELj1EifdddEEvlNS_24const_host_device_scalarIT5_EEPKT1_PKT2_PKT3_PT4_21rocsparse_index_base_b.has_recursion, 0
	.set _ZN9rocsparseL23coomvn_aos_atomic_loopsILj256ELj1EifdddEEvlNS_24const_host_device_scalarIT5_EEPKT1_PKT2_PKT3_PT4_21rocsparse_index_base_b.has_indirect_call, 0
	.section	.AMDGPU.csdata,"",@progbits
; Kernel info:
; codeLenInByte = 1344
; TotalNumSgprs: 20
; NumVgprs: 14
; ScratchSize: 0
; MemoryBound: 0
; FloatMode: 240
; IeeeMode: 1
; LDSByteSize: 3072 bytes/workgroup (compile time only)
; SGPRBlocks: 2
; VGPRBlocks: 3
; NumSGPRsForWavesPerEU: 20
; NumVGPRsForWavesPerEU: 14
; Occupancy: 10
; WaveLimiterHint : 1
; COMPUTE_PGM_RSRC2:SCRATCH_EN: 0
; COMPUTE_PGM_RSRC2:USER_SGPR: 6
; COMPUTE_PGM_RSRC2:TRAP_HANDLER: 0
; COMPUTE_PGM_RSRC2:TGID_X_EN: 1
; COMPUTE_PGM_RSRC2:TGID_Y_EN: 0
; COMPUTE_PGM_RSRC2:TGID_Z_EN: 0
; COMPUTE_PGM_RSRC2:TIDIG_COMP_CNT: 0
	.section	.text._ZN9rocsparseL17coomvt_aos_kernelILj1024EifdddEEv20rocsparse_operation_lNS_24const_host_device_scalarIT4_EEPKT0_PKT1_PKT2_PT3_21rocsparse_index_base_b,"axG",@progbits,_ZN9rocsparseL17coomvt_aos_kernelILj1024EifdddEEv20rocsparse_operation_lNS_24const_host_device_scalarIT4_EEPKT0_PKT1_PKT2_PT3_21rocsparse_index_base_b,comdat
	.globl	_ZN9rocsparseL17coomvt_aos_kernelILj1024EifdddEEv20rocsparse_operation_lNS_24const_host_device_scalarIT4_EEPKT0_PKT1_PKT2_PT3_21rocsparse_index_base_b ; -- Begin function _ZN9rocsparseL17coomvt_aos_kernelILj1024EifdddEEv20rocsparse_operation_lNS_24const_host_device_scalarIT4_EEPKT0_PKT1_PKT2_PT3_21rocsparse_index_base_b
	.p2align	8
	.type	_ZN9rocsparseL17coomvt_aos_kernelILj1024EifdddEEv20rocsparse_operation_lNS_24const_host_device_scalarIT4_EEPKT0_PKT1_PKT2_PT3_21rocsparse_index_base_b,@function
_ZN9rocsparseL17coomvt_aos_kernelILj1024EifdddEEv20rocsparse_operation_lNS_24const_host_device_scalarIT4_EEPKT0_PKT1_PKT2_PT3_21rocsparse_index_base_b: ; @_ZN9rocsparseL17coomvt_aos_kernelILj1024EifdddEEv20rocsparse_operation_lNS_24const_host_device_scalarIT4_EEPKT0_PKT1_PKT2_PT3_21rocsparse_index_base_b
; %bb.0:
	s_load_dwordx2 s[16:17], s[4:5], 0x38
	s_load_dwordx4 s[0:3], s[4:5], 0x8
	s_waitcnt lgkmcnt(0)
	s_bitcmp1_b32 s17, 0
	s_cselect_b64 s[8:9], -1, 0
	v_mov_b32_e32 v5, s3
	s_and_b64 vcc, exec, s[8:9]
	v_mov_b32_e32 v4, s2
	s_cbranch_vccnz .LBB71_2
; %bb.1:
	v_mov_b32_e32 v1, s2
	v_mov_b32_e32 v2, s3
	flat_load_dwordx2 v[4:5], v[1:2]
.LBB71_2:
	s_waitcnt vmcnt(0) lgkmcnt(0)
	v_cmp_neq_f64_e32 vcc, 0, v[4:5]
	s_and_saveexec_b64 s[2:3], vcc
	s_cbranch_execz .LBB71_6
; %bb.3:
	s_load_dword s2, s[4:5], 0x4c
	v_mov_b32_e32 v1, 0
	s_waitcnt lgkmcnt(0)
	s_and_b32 s2, s2, 0xffff
	s_mul_i32 s6, s6, s2
	v_add_u32_e32 v0, s6, v0
	v_cmp_gt_i64_e32 vcc, s[0:1], v[0:1]
	s_and_b64 exec, exec, vcc
	s_cbranch_execz .LBB71_6
; %bb.4:
	s_load_dwordx8 s[8:15], s[4:5], 0x18
	v_lshlrev_b64 v[2:3], 3, v[0:1]
	v_lshlrev_b64 v[0:1], 2, v[0:1]
	s_mov_b64 s[0:1], 0
	s_waitcnt lgkmcnt(0)
	v_mov_b32_e32 v6, s9
	v_add_co_u32_e32 v2, vcc, s8, v2
	v_addc_co_u32_e32 v3, vcc, v6, v3, vcc
	global_load_dwordx2 v[2:3], v[2:3], off
	v_mov_b32_e32 v6, s11
	v_add_co_u32_e32 v0, vcc, s10, v0
	v_addc_co_u32_e32 v1, vcc, v6, v1, vcc
	global_load_dword v8, v[0:1], off
	v_mov_b32_e32 v6, s13
	v_mov_b32_e32 v7, s15
	s_waitcnt vmcnt(1)
	v_subrev_u32_e32 v0, s16, v2
	v_ashrrev_i32_e32 v1, 31, v0
	v_lshlrev_b64 v[0:1], 3, v[0:1]
	v_subrev_u32_e32 v2, s16, v3
	v_add_co_u32_e32 v0, vcc, s12, v0
	v_addc_co_u32_e32 v1, vcc, v6, v1, vcc
	global_load_dwordx2 v[0:1], v[0:1], off
	v_ashrrev_i32_e32 v3, 31, v2
	v_lshlrev_b64 v[2:3], 3, v[2:3]
	s_waitcnt vmcnt(1)
	v_cvt_f64_f32_e32 v[8:9], v8
	v_add_co_u32_e32 v6, vcc, s14, v2
	v_addc_co_u32_e32 v7, vcc, v7, v3, vcc
	global_load_dwordx2 v[2:3], v[6:7], off
	v_mul_f64 v[4:5], v[4:5], v[8:9]
	s_waitcnt vmcnt(1)
	v_mul_f64 v[4:5], v[0:1], v[4:5]
.LBB71_5:                               ; =>This Inner Loop Header: Depth=1
	s_waitcnt vmcnt(0)
	v_add_f64 v[0:1], v[2:3], v[4:5]
	global_atomic_cmpswap_x2 v[0:1], v[6:7], v[0:3], off glc
	s_waitcnt vmcnt(0)
	v_cmp_eq_u64_e32 vcc, v[0:1], v[2:3]
	v_mov_b32_e32 v3, v1
	s_or_b64 s[0:1], vcc, s[0:1]
	v_mov_b32_e32 v2, v0
	s_andn2_b64 exec, exec, s[0:1]
	s_cbranch_execnz .LBB71_5
.LBB71_6:
	s_endpgm
	.section	.rodata,"a",@progbits
	.p2align	6, 0x0
	.amdhsa_kernel _ZN9rocsparseL17coomvt_aos_kernelILj1024EifdddEEv20rocsparse_operation_lNS_24const_host_device_scalarIT4_EEPKT0_PKT1_PKT2_PT3_21rocsparse_index_base_b
		.amdhsa_group_segment_fixed_size 0
		.amdhsa_private_segment_fixed_size 0
		.amdhsa_kernarg_size 320
		.amdhsa_user_sgpr_count 6
		.amdhsa_user_sgpr_private_segment_buffer 1
		.amdhsa_user_sgpr_dispatch_ptr 0
		.amdhsa_user_sgpr_queue_ptr 0
		.amdhsa_user_sgpr_kernarg_segment_ptr 1
		.amdhsa_user_sgpr_dispatch_id 0
		.amdhsa_user_sgpr_flat_scratch_init 0
		.amdhsa_user_sgpr_private_segment_size 0
		.amdhsa_uses_dynamic_stack 0
		.amdhsa_system_sgpr_private_segment_wavefront_offset 0
		.amdhsa_system_sgpr_workgroup_id_x 1
		.amdhsa_system_sgpr_workgroup_id_y 0
		.amdhsa_system_sgpr_workgroup_id_z 0
		.amdhsa_system_sgpr_workgroup_info 0
		.amdhsa_system_vgpr_workitem_id 0
		.amdhsa_next_free_vgpr 10
		.amdhsa_next_free_sgpr 18
		.amdhsa_reserve_vcc 1
		.amdhsa_reserve_flat_scratch 0
		.amdhsa_float_round_mode_32 0
		.amdhsa_float_round_mode_16_64 0
		.amdhsa_float_denorm_mode_32 3
		.amdhsa_float_denorm_mode_16_64 3
		.amdhsa_dx10_clamp 1
		.amdhsa_ieee_mode 1
		.amdhsa_fp16_overflow 0
		.amdhsa_exception_fp_ieee_invalid_op 0
		.amdhsa_exception_fp_denorm_src 0
		.amdhsa_exception_fp_ieee_div_zero 0
		.amdhsa_exception_fp_ieee_overflow 0
		.amdhsa_exception_fp_ieee_underflow 0
		.amdhsa_exception_fp_ieee_inexact 0
		.amdhsa_exception_int_div_zero 0
	.end_amdhsa_kernel
	.section	.text._ZN9rocsparseL17coomvt_aos_kernelILj1024EifdddEEv20rocsparse_operation_lNS_24const_host_device_scalarIT4_EEPKT0_PKT1_PKT2_PT3_21rocsparse_index_base_b,"axG",@progbits,_ZN9rocsparseL17coomvt_aos_kernelILj1024EifdddEEv20rocsparse_operation_lNS_24const_host_device_scalarIT4_EEPKT0_PKT1_PKT2_PT3_21rocsparse_index_base_b,comdat
.Lfunc_end71:
	.size	_ZN9rocsparseL17coomvt_aos_kernelILj1024EifdddEEv20rocsparse_operation_lNS_24const_host_device_scalarIT4_EEPKT0_PKT1_PKT2_PT3_21rocsparse_index_base_b, .Lfunc_end71-_ZN9rocsparseL17coomvt_aos_kernelILj1024EifdddEEv20rocsparse_operation_lNS_24const_host_device_scalarIT4_EEPKT0_PKT1_PKT2_PT3_21rocsparse_index_base_b
                                        ; -- End function
	.set _ZN9rocsparseL17coomvt_aos_kernelILj1024EifdddEEv20rocsparse_operation_lNS_24const_host_device_scalarIT4_EEPKT0_PKT1_PKT2_PT3_21rocsparse_index_base_b.num_vgpr, 10
	.set _ZN9rocsparseL17coomvt_aos_kernelILj1024EifdddEEv20rocsparse_operation_lNS_24const_host_device_scalarIT4_EEPKT0_PKT1_PKT2_PT3_21rocsparse_index_base_b.num_agpr, 0
	.set _ZN9rocsparseL17coomvt_aos_kernelILj1024EifdddEEv20rocsparse_operation_lNS_24const_host_device_scalarIT4_EEPKT0_PKT1_PKT2_PT3_21rocsparse_index_base_b.numbered_sgpr, 18
	.set _ZN9rocsparseL17coomvt_aos_kernelILj1024EifdddEEv20rocsparse_operation_lNS_24const_host_device_scalarIT4_EEPKT0_PKT1_PKT2_PT3_21rocsparse_index_base_b.num_named_barrier, 0
	.set _ZN9rocsparseL17coomvt_aos_kernelILj1024EifdddEEv20rocsparse_operation_lNS_24const_host_device_scalarIT4_EEPKT0_PKT1_PKT2_PT3_21rocsparse_index_base_b.private_seg_size, 0
	.set _ZN9rocsparseL17coomvt_aos_kernelILj1024EifdddEEv20rocsparse_operation_lNS_24const_host_device_scalarIT4_EEPKT0_PKT1_PKT2_PT3_21rocsparse_index_base_b.uses_vcc, 1
	.set _ZN9rocsparseL17coomvt_aos_kernelILj1024EifdddEEv20rocsparse_operation_lNS_24const_host_device_scalarIT4_EEPKT0_PKT1_PKT2_PT3_21rocsparse_index_base_b.uses_flat_scratch, 0
	.set _ZN9rocsparseL17coomvt_aos_kernelILj1024EifdddEEv20rocsparse_operation_lNS_24const_host_device_scalarIT4_EEPKT0_PKT1_PKT2_PT3_21rocsparse_index_base_b.has_dyn_sized_stack, 0
	.set _ZN9rocsparseL17coomvt_aos_kernelILj1024EifdddEEv20rocsparse_operation_lNS_24const_host_device_scalarIT4_EEPKT0_PKT1_PKT2_PT3_21rocsparse_index_base_b.has_recursion, 0
	.set _ZN9rocsparseL17coomvt_aos_kernelILj1024EifdddEEv20rocsparse_operation_lNS_24const_host_device_scalarIT4_EEPKT0_PKT1_PKT2_PT3_21rocsparse_index_base_b.has_indirect_call, 0
	.section	.AMDGPU.csdata,"",@progbits
; Kernel info:
; codeLenInByte = 348
; TotalNumSgprs: 22
; NumVgprs: 10
; ScratchSize: 0
; MemoryBound: 0
; FloatMode: 240
; IeeeMode: 1
; LDSByteSize: 0 bytes/workgroup (compile time only)
; SGPRBlocks: 2
; VGPRBlocks: 2
; NumSGPRsForWavesPerEU: 22
; NumVGPRsForWavesPerEU: 10
; Occupancy: 10
; WaveLimiterHint : 1
; COMPUTE_PGM_RSRC2:SCRATCH_EN: 0
; COMPUTE_PGM_RSRC2:USER_SGPR: 6
; COMPUTE_PGM_RSRC2:TRAP_HANDLER: 0
; COMPUTE_PGM_RSRC2:TGID_X_EN: 1
; COMPUTE_PGM_RSRC2:TGID_Y_EN: 0
; COMPUTE_PGM_RSRC2:TGID_Z_EN: 0
; COMPUTE_PGM_RSRC2:TIDIG_COMP_CNT: 0
	.section	.text._ZN9rocsparseL26coomvn_aos_segmented_loopsILj256EifdddEEvlT0_NS_24const_host_device_scalarIT4_EEPKS1_PKT1_PKT2_PT3_PS1_PS3_21rocsparse_index_base_b,"axG",@progbits,_ZN9rocsparseL26coomvn_aos_segmented_loopsILj256EifdddEEvlT0_NS_24const_host_device_scalarIT4_EEPKS1_PKT1_PKT2_PT3_PS1_PS3_21rocsparse_index_base_b,comdat
	.globl	_ZN9rocsparseL26coomvn_aos_segmented_loopsILj256EifdddEEvlT0_NS_24const_host_device_scalarIT4_EEPKS1_PKT1_PKT2_PT3_PS1_PS3_21rocsparse_index_base_b ; -- Begin function _ZN9rocsparseL26coomvn_aos_segmented_loopsILj256EifdddEEvlT0_NS_24const_host_device_scalarIT4_EEPKS1_PKT1_PKT2_PT3_PS1_PS3_21rocsparse_index_base_b
	.p2align	8
	.type	_ZN9rocsparseL26coomvn_aos_segmented_loopsILj256EifdddEEvlT0_NS_24const_host_device_scalarIT4_EEPKS1_PKT1_PKT2_PT3_PS1_PS3_21rocsparse_index_base_b,@function
_ZN9rocsparseL26coomvn_aos_segmented_loopsILj256EifdddEEvlT0_NS_24const_host_device_scalarIT4_EEPKS1_PKT1_PKT2_PT3_PS1_PS3_21rocsparse_index_base_b: ; @_ZN9rocsparseL26coomvn_aos_segmented_loopsILj256EifdddEEvlT0_NS_24const_host_device_scalarIT4_EEPKS1_PKT1_PKT2_PT3_PS1_PS3_21rocsparse_index_base_b
; %bb.0:
	s_load_dwordx2 s[34:35], s[4:5], 0x48
	s_load_dwordx2 s[0:1], s[4:5], 0x10
	s_waitcnt lgkmcnt(0)
	s_bitcmp1_b32 s35, 0
	s_cselect_b64 s[2:3], -1, 0
	v_mov_b32_e32 v2, s1
	s_and_b64 vcc, exec, s[2:3]
	v_mov_b32_e32 v1, s0
	s_cbranch_vccnz .LBB72_2
; %bb.1:
	v_mov_b32_e32 v2, s1
	v_mov_b32_e32 v1, s0
	flat_load_dwordx2 v[1:2], v[1:2]
.LBB72_2:
	s_waitcnt vmcnt(0) lgkmcnt(0)
	v_cmp_neq_f64_e32 vcc, 0, v[1:2]
	s_and_saveexec_b64 s[0:1], vcc
	s_cbranch_execz .LBB72_89
; %bb.3:
	s_load_dword s42, s[4:5], 0x8
	s_load_dwordx2 s[36:37], s[4:5], 0x0
	s_load_dwordx4 s[28:31], s[4:5], 0x18
	s_load_dwordx2 s[40:41], s[4:5], 0x28
	v_mov_b32_e32 v8, 0
	s_waitcnt lgkmcnt(0)
	s_mul_i32 s0, s6, s42
	v_lshl_or_b32 v7, s0, 8, v0
	v_cmp_gt_i64_e32 vcc, s[36:37], v[7:8]
	v_mov_b32_e32 v5, 0
	v_lshlrev_b64 v[9:10], 3, v[7:8]
	v_lshlrev_b64 v[11:12], 2, v[7:8]
	v_mov_b32_e32 v6, 0
	v_mov_b32_e32 v3, -1
	s_and_saveexec_b64 s[0:1], vcc
	s_cbranch_execz .LBB72_5
; %bb.4:
	v_mov_b32_e32 v4, s29
	v_add_co_u32_e32 v3, vcc, s28, v9
	v_addc_co_u32_e32 v4, vcc, v4, v10, vcc
	global_load_dwordx2 v[3:4], v[3:4], off glc slc
	v_mov_b32_e32 v6, s31
	v_add_co_u32_e32 v5, vcc, s30, v11
	v_addc_co_u32_e32 v6, vcc, v6, v12, vcc
	global_load_dword v6, v[5:6], off glc slc
	v_mov_b32_e32 v8, s41
	s_ashr_i32 s35, s34, 31
	s_lshl_b64 s[2:3], s[34:35], 3
	v_mov_b32_e32 v13, s3
	s_waitcnt vmcnt(1)
	v_ashrrev_i32_e32 v5, 31, v4
	v_lshlrev_b64 v[4:5], 3, v[4:5]
	v_subrev_u32_e32 v3, s34, v3
	v_add_co_u32_e32 v4, vcc, s40, v4
	v_addc_co_u32_e32 v5, vcc, v8, v5, vcc
	v_subrev_co_u32_e32 v4, vcc, s2, v4
	v_subb_co_u32_e32 v5, vcc, v5, v13, vcc
	global_load_dwordx2 v[4:5], v[4:5], off
	s_waitcnt vmcnt(1)
	v_cvt_f64_f32_e32 v[13:14], v6
	s_waitcnt vmcnt(0)
	v_mul_f64 v[5:6], v[4:5], v[13:14]
.LBB72_5:
	s_or_b64 exec, exec, s[0:1]
	v_lshlrev_b32_e32 v4, 2, v0
	v_or_b32_e32 v14, 0x800, v4
	v_lshlrev_b32_e32 v15, 3, v0
	v_cmp_eq_u32_e64 s[0:1], 0, v0
	v_cmp_ne_u32_e64 s[2:3], 0, v0
	v_add_u32_e32 v16, -4, v14
	ds_write_b32 v4, v3 offset:2048
	ds_write_b64 v15, v[5:6]
	s_waitcnt lgkmcnt(0)
	s_barrier
	s_and_saveexec_b64 s[8:9], s[2:3]
	s_cbranch_execz .LBB72_9
; %bb.6:
	ds_read_b32 v4, v16
	s_waitcnt lgkmcnt(0)
	v_cmp_eq_u32_e32 vcc, v3, v4
	s_and_saveexec_b64 s[10:11], vcc
	s_cbranch_execz .LBB72_8
; %bb.7:
	v_add_u32_e32 v4, -8, v15
	ds_read_b64 v[17:18], v4
	s_waitcnt lgkmcnt(0)
	v_add_f64 v[5:6], v[5:6], v[17:18]
.LBB72_8:
	s_or_b64 exec, exec, s[10:11]
.LBB72_9:
	s_or_b64 exec, exec, s[8:9]
	v_cmp_lt_u32_e64 s[22:23], 1, v0
	v_add_u32_e32 v17, -8, v14
	s_barrier
	ds_write_b64 v15, v[5:6]
	s_waitcnt lgkmcnt(0)
	s_barrier
	s_and_saveexec_b64 s[8:9], s[22:23]
	s_cbranch_execz .LBB72_13
; %bb.10:
	ds_read_b32 v4, v17
	s_waitcnt lgkmcnt(0)
	v_cmp_eq_u32_e32 vcc, v3, v4
	s_and_saveexec_b64 s[10:11], vcc
	s_cbranch_execz .LBB72_12
; %bb.11:
	v_add_u32_e32 v4, -16, v15
	ds_read_b64 v[18:19], v4
	s_waitcnt lgkmcnt(0)
	v_add_f64 v[5:6], v[5:6], v[18:19]
.LBB72_12:
	s_or_b64 exec, exec, s[10:11]
.LBB72_13:
	s_or_b64 exec, exec, s[8:9]
	v_cmp_lt_u32_e64 s[8:9], 3, v0
	v_add_u32_e32 v18, -16, v14
	s_barrier
	ds_write_b64 v15, v[5:6]
	s_waitcnt lgkmcnt(0)
	s_barrier
	s_and_saveexec_b64 s[10:11], s[8:9]
	s_cbranch_execz .LBB72_17
; %bb.14:
	ds_read_b32 v4, v18
	s_waitcnt lgkmcnt(0)
	v_cmp_eq_u32_e32 vcc, v3, v4
	s_and_saveexec_b64 s[12:13], vcc
	s_cbranch_execz .LBB72_16
; %bb.15:
	v_subrev_u32_e32 v4, 32, v15
	ds_read_b64 v[19:20], v4
	s_waitcnt lgkmcnt(0)
	v_add_f64 v[5:6], v[5:6], v[19:20]
.LBB72_16:
	s_or_b64 exec, exec, s[12:13]
.LBB72_17:
	s_or_b64 exec, exec, s[10:11]
	v_cmp_lt_u32_e64 s[10:11], 7, v0
	v_subrev_u32_e32 v19, 32, v14
	s_barrier
	ds_write_b64 v15, v[5:6]
	s_waitcnt lgkmcnt(0)
	s_barrier
	s_and_saveexec_b64 s[12:13], s[10:11]
	s_cbranch_execz .LBB72_21
; %bb.18:
	ds_read_b32 v4, v19
	s_waitcnt lgkmcnt(0)
	v_cmp_eq_u32_e32 vcc, v3, v4
	s_and_saveexec_b64 s[14:15], vcc
	s_cbranch_execz .LBB72_20
; %bb.19:
	v_subrev_u32_e32 v4, 64, v15
	ds_read_b64 v[20:21], v4
	s_waitcnt lgkmcnt(0)
	v_add_f64 v[5:6], v[5:6], v[20:21]
.LBB72_20:
	s_or_b64 exec, exec, s[14:15]
.LBB72_21:
	s_or_b64 exec, exec, s[12:13]
	v_cmp_lt_u32_e64 s[12:13], 15, v0
	v_subrev_u32_e32 v20, 64, v14
	s_barrier
	ds_write_b64 v15, v[5:6]
	s_waitcnt lgkmcnt(0)
	s_barrier
	s_and_saveexec_b64 s[14:15], s[12:13]
	s_cbranch_execz .LBB72_25
; %bb.22:
	ds_read_b32 v4, v20
	s_waitcnt lgkmcnt(0)
	v_cmp_eq_u32_e32 vcc, v3, v4
	s_and_saveexec_b64 s[16:17], vcc
	s_cbranch_execz .LBB72_24
; %bb.23:
	v_add_u32_e32 v4, 0xffffff80, v15
	ds_read_b64 v[21:22], v4
	s_waitcnt lgkmcnt(0)
	v_add_f64 v[5:6], v[5:6], v[21:22]
.LBB72_24:
	s_or_b64 exec, exec, s[16:17]
.LBB72_25:
	s_or_b64 exec, exec, s[14:15]
	v_cmp_lt_u32_e64 s[14:15], 31, v0
	s_barrier
	ds_write_b64 v15, v[5:6]
	s_waitcnt lgkmcnt(0)
	s_barrier
	s_and_saveexec_b64 s[16:17], s[14:15]
	s_cbranch_execz .LBB72_29
; %bb.26:
	v_add_u32_e32 v4, 0xffffff80, v14
	ds_read_b32 v4, v4
	s_waitcnt lgkmcnt(0)
	v_cmp_eq_u32_e32 vcc, v3, v4
	s_and_saveexec_b64 s[18:19], vcc
	s_cbranch_execz .LBB72_28
; %bb.27:
	v_add_u32_e32 v4, 0xffffff00, v15
	ds_read_b64 v[21:22], v4
	s_waitcnt lgkmcnt(0)
	v_add_f64 v[5:6], v[5:6], v[21:22]
.LBB72_28:
	s_or_b64 exec, exec, s[18:19]
.LBB72_29:
	s_or_b64 exec, exec, s[16:17]
	v_cmp_lt_u32_e64 s[16:17], 63, v0
	s_barrier
	ds_write_b64 v15, v[5:6]
	s_waitcnt lgkmcnt(0)
	s_barrier
	s_and_saveexec_b64 s[18:19], s[16:17]
	s_cbranch_execz .LBB72_33
; %bb.30:
	v_add_u32_e32 v4, 0xffffff00, v14
	ds_read_b32 v4, v4
	s_waitcnt lgkmcnt(0)
	v_cmp_eq_u32_e32 vcc, v3, v4
	s_and_saveexec_b64 s[20:21], vcc
	s_cbranch_execz .LBB72_32
; %bb.31:
	v_add_u32_e32 v4, 0xfffffe00, v15
	ds_read_b64 v[21:22], v4
	s_waitcnt lgkmcnt(0)
	v_add_f64 v[5:6], v[5:6], v[21:22]
.LBB72_32:
	s_or_b64 exec, exec, s[20:21]
.LBB72_33:
	s_or_b64 exec, exec, s[18:19]
	s_load_dwordx2 s[38:39], s[4:5], 0x30
	s_movk_i32 s7, 0x7f
	v_cmp_lt_u32_e64 s[18:19], s7, v0
	s_waitcnt lgkmcnt(0)
	s_barrier
	ds_write_b64 v15, v[5:6]
	s_waitcnt lgkmcnt(0)
	s_barrier
	s_and_saveexec_b64 s[20:21], s[18:19]
	s_cbranch_execz .LBB72_37
; %bb.34:
	v_add_u32_e32 v4, 0xfffffe00, v14
	ds_read_b32 v4, v4
	s_waitcnt lgkmcnt(0)
	v_cmp_eq_u32_e32 vcc, v3, v4
	s_and_saveexec_b64 s[24:25], vcc
	s_cbranch_execz .LBB72_36
; %bb.35:
	v_add_u32_e32 v4, 0xfffffc00, v15
	ds_read_b64 v[21:22], v4
	s_waitcnt lgkmcnt(0)
	v_add_f64 v[5:6], v[5:6], v[21:22]
.LBB72_36:
	s_or_b64 exec, exec, s[24:25]
.LBB72_37:
	s_or_b64 exec, exec, s[20:21]
	s_movk_i32 s7, 0xff
	v_cmp_gt_u32_e64 s[20:21], s7, v0
	s_barrier
	ds_write_b64 v15, v[5:6]
	s_waitcnt lgkmcnt(0)
	s_barrier
	s_and_saveexec_b64 s[26:27], s[20:21]
	s_cbranch_execz .LBB72_40
; %bb.38:
	ds_read_b32 v4, v14 offset:4
	v_cmp_lt_i32_e64 s[24:25], -1, v3
	s_waitcnt lgkmcnt(0)
	v_cmp_ne_u32_e32 vcc, v3, v4
	s_and_b64 s[24:25], s[24:25], vcc
	s_and_b64 exec, exec, s[24:25]
	s_cbranch_execz .LBB72_40
; %bb.39:
	v_mov_b32_e32 v4, 0
	v_lshlrev_b64 v[21:22], 3, v[3:4]
	v_mov_b32_e32 v4, s39
	v_add_co_u32_e32 v21, vcc, s38, v21
	v_addc_co_u32_e32 v22, vcc, v4, v22, vcc
	global_load_dwordx2 v[23:24], v[21:22], off
	s_waitcnt vmcnt(0)
	v_fma_f64 v[23:24], v[1:2], v[5:6], v[23:24]
	global_store_dwordx2 v[21:22], v[23:24], off
.LBB72_40:
	s_or_b64 exec, exec, s[26:27]
	s_load_dwordx4 s[24:27], s[4:5], 0x38
	s_cmp_lt_i32 s42, 2
	s_cbranch_scc1 .LBB72_87
; %bb.41:
	v_mov_b32_e32 v3, s31
	v_add_co_u32_e32 v4, vcc, s30, v11
	s_ashr_i32 s35, s34, 31
	v_addc_co_u32_e32 v3, vcc, v3, v12, vcc
	s_lshl_b64 s[4:5], s[34:35], 3
	v_mov_b32_e32 v5, s29
	v_add_co_u32_e32 v6, vcc, s28, v9
	s_sub_u32 s7, s40, s4
	v_addc_co_u32_e32 v5, vcc, v5, v10, vcc
	s_movk_i32 s4, 0x400
	v_add_co_u32_e32 v8, vcc, s4, v4
	v_addc_co_u32_e32 v9, vcc, 0, v3, vcc
	s_movk_i32 s4, 0x800
	v_add_co_u32_e32 v10, vcc, s4, v6
	;; [unrolled: 3-line block ×3, first 2 shown]
	s_subb_u32 s33, s41, s5
	v_add_u32_e32 v21, -16, v15
	v_subrev_u32_e32 v22, 32, v15
	v_subrev_u32_e32 v23, 64, v15
	v_add_u32_e32 v24, 0xffffff80, v15
	v_add_u32_e32 v25, 0xffffff80, v14
	v_add_u32_e32 v26, 0xffffff00, v15
	v_add_u32_e32 v27, 0xffffff00, v14
	v_add_u32_e32 v28, 0xfffffe00, v15
	v_add_u32_e32 v29, 0xfffffe00, v14
	v_add_u32_e32 v30, 0xfffffc00, v15
	v_addc_co_u32_e64 v13, s[4:5], 0, 0, vcc
	s_add_i32 s35, s42, -1
	s_mov_b32 s29, 0
	v_mov_b32_e32 v4, 0
	s_branch .LBB72_43
.LBB72_42:                              ;   in Loop: Header=BB72_43 Depth=1
	s_or_b64 exec, exec, s[30:31]
	v_add_co_u32_e32 v8, vcc, 0x400, v8
	v_addc_co_u32_e32 v9, vcc, 0, v9, vcc
	v_add_co_u32_e32 v10, vcc, 0x800, v10
	v_addc_co_u32_e32 v11, vcc, 0, v11, vcc
	v_add_co_u32_e32 v12, vcc, 0x100, v12
	s_add_i32 s35, s35, -1
	s_cmp_eq_u32 s35, 0
	v_addc_co_u32_e32 v13, vcc, 0, v13, vcc
	s_cbranch_scc1 .LBB72_87
.LBB72_43:                              ; =>This Inner Loop Header: Depth=1
	v_cmp_gt_i64_e32 vcc, s[36:37], v[12:13]
	v_mov_b32_e32 v5, 0
	v_mov_b32_e32 v6, 0
	v_mov_b32_e32 v3, -1
	s_and_saveexec_b64 s[4:5], vcc
	s_cbranch_execz .LBB72_45
; %bb.44:                               ;   in Loop: Header=BB72_43 Depth=1
	global_load_dwordx2 v[31:32], v[10:11], off glc slc
	global_load_dword v3, v[8:9], off glc slc
	v_mov_b32_e32 v7, s33
	s_waitcnt vmcnt(1)
	v_ashrrev_i32_e32 v6, 31, v32
	v_mov_b32_e32 v5, v32
	v_lshlrev_b64 v[5:6], 3, v[5:6]
	s_waitcnt vmcnt(0)
	v_cvt_f64_f32_e32 v[32:33], v3
	v_add_co_u32_e32 v5, vcc, s7, v5
	v_addc_co_u32_e32 v6, vcc, v7, v6, vcc
	global_load_dwordx2 v[5:6], v[5:6], off
	v_subrev_u32_e32 v3, s34, v31
	s_waitcnt vmcnt(0)
	v_mul_f64 v[5:6], v[5:6], v[32:33]
.LBB72_45:                              ;   in Loop: Header=BB72_43 Depth=1
	s_or_b64 exec, exec, s[4:5]
	s_and_saveexec_b64 s[4:5], s[0:1]
	s_cbranch_execz .LBB72_52
; %bb.46:                               ;   in Loop: Header=BB72_43 Depth=1
	ds_read_b32 v7, v4 offset:3068
	s_waitcnt lgkmcnt(0)
	v_readfirstlane_b32 s28, v7
	v_cmp_ne_u32_e32 vcc, v3, v7
	s_and_saveexec_b64 s[30:31], vcc
	s_xor_b64 s[30:31], exec, s[30:31]
	s_cbranch_execz .LBB72_49
; %bb.47:                               ;   in Loop: Header=BB72_43 Depth=1
	s_cmp_lt_i32 s28, 0
	s_cbranch_scc1 .LBB72_49
; %bb.48:                               ;   in Loop: Header=BB72_43 Depth=1
	s_lshl_b64 s[40:41], s[28:29], 3
	s_add_u32 s40, s38, s40
	s_addc_u32 s41, s39, s41
	global_load_dwordx2 v[31:32], v4, s[40:41]
	ds_read_b64 v[33:34], v4 offset:2040
	s_waitcnt vmcnt(0) lgkmcnt(0)
	v_fma_f64 v[31:32], v[1:2], v[33:34], v[31:32]
	global_store_dwordx2 v4, v[31:32], s[40:41]
.LBB72_49:                              ;   in Loop: Header=BB72_43 Depth=1
	s_andn2_saveexec_b64 s[30:31], s[30:31]
	s_cbranch_execz .LBB72_51
; %bb.50:                               ;   in Loop: Header=BB72_43 Depth=1
	ds_read_b64 v[31:32], v4 offset:2040
	s_waitcnt lgkmcnt(0)
	v_add_f64 v[5:6], v[5:6], v[31:32]
.LBB72_51:                              ;   in Loop: Header=BB72_43 Depth=1
	s_or_b64 exec, exec, s[30:31]
.LBB72_52:                              ;   in Loop: Header=BB72_43 Depth=1
	s_or_b64 exec, exec, s[4:5]
	s_waitcnt vmcnt(0) lgkmcnt(0)
	s_barrier
	ds_write_b32 v14, v3
	ds_write_b64 v15, v[5:6]
	s_waitcnt lgkmcnt(0)
	s_barrier
	s_and_saveexec_b64 s[4:5], s[2:3]
	s_cbranch_execz .LBB72_56
; %bb.53:                               ;   in Loop: Header=BB72_43 Depth=1
	ds_read_b32 v7, v16
	s_waitcnt lgkmcnt(0)
	v_cmp_eq_u32_e32 vcc, v3, v7
	s_and_saveexec_b64 s[30:31], vcc
	s_cbranch_execz .LBB72_55
; %bb.54:                               ;   in Loop: Header=BB72_43 Depth=1
	v_add_u32_e32 v7, -8, v15
	ds_read_b64 v[31:32], v7
	s_waitcnt lgkmcnt(0)
	v_add_f64 v[5:6], v[5:6], v[31:32]
.LBB72_55:                              ;   in Loop: Header=BB72_43 Depth=1
	s_or_b64 exec, exec, s[30:31]
.LBB72_56:                              ;   in Loop: Header=BB72_43 Depth=1
	s_or_b64 exec, exec, s[4:5]
	s_barrier
	ds_write_b64 v15, v[5:6]
	s_waitcnt lgkmcnt(0)
	s_barrier
	s_and_saveexec_b64 s[4:5], s[22:23]
	s_cbranch_execz .LBB72_60
; %bb.57:                               ;   in Loop: Header=BB72_43 Depth=1
	ds_read_b32 v7, v17
	s_waitcnt lgkmcnt(0)
	v_cmp_eq_u32_e32 vcc, v3, v7
	s_and_saveexec_b64 s[30:31], vcc
	s_cbranch_execz .LBB72_59
; %bb.58:                               ;   in Loop: Header=BB72_43 Depth=1
	ds_read_b64 v[31:32], v21
	s_waitcnt lgkmcnt(0)
	v_add_f64 v[5:6], v[5:6], v[31:32]
.LBB72_59:                              ;   in Loop: Header=BB72_43 Depth=1
	s_or_b64 exec, exec, s[30:31]
.LBB72_60:                              ;   in Loop: Header=BB72_43 Depth=1
	s_or_b64 exec, exec, s[4:5]
	s_barrier
	ds_write_b64 v15, v[5:6]
	s_waitcnt lgkmcnt(0)
	s_barrier
	s_and_saveexec_b64 s[4:5], s[8:9]
	s_cbranch_execz .LBB72_64
; %bb.61:                               ;   in Loop: Header=BB72_43 Depth=1
	ds_read_b32 v7, v18
	s_waitcnt lgkmcnt(0)
	v_cmp_eq_u32_e32 vcc, v3, v7
	s_and_saveexec_b64 s[30:31], vcc
	s_cbranch_execz .LBB72_63
; %bb.62:                               ;   in Loop: Header=BB72_43 Depth=1
	ds_read_b64 v[31:32], v22
	s_waitcnt lgkmcnt(0)
	v_add_f64 v[5:6], v[5:6], v[31:32]
.LBB72_63:                              ;   in Loop: Header=BB72_43 Depth=1
	s_or_b64 exec, exec, s[30:31]
.LBB72_64:                              ;   in Loop: Header=BB72_43 Depth=1
	;; [unrolled: 20-line block ×7, first 2 shown]
	s_or_b64 exec, exec, s[4:5]
	s_barrier
	ds_write_b64 v15, v[5:6]
	s_waitcnt lgkmcnt(0)
	s_barrier
	s_and_saveexec_b64 s[30:31], s[20:21]
	s_cbranch_execz .LBB72_42
; %bb.85:                               ;   in Loop: Header=BB72_43 Depth=1
	ds_read_b32 v7, v14 offset:4
	v_cmp_lt_i32_e64 s[4:5], -1, v3
	s_waitcnt lgkmcnt(0)
	v_cmp_ne_u32_e32 vcc, v3, v7
	s_and_b64 s[4:5], s[4:5], vcc
	s_and_b64 exec, exec, s[4:5]
	s_cbranch_execz .LBB72_42
; %bb.86:                               ;   in Loop: Header=BB72_43 Depth=1
	v_lshlrev_b64 v[31:32], 3, v[3:4]
	v_mov_b32_e32 v7, s39
	v_add_co_u32_e32 v31, vcc, s38, v31
	v_addc_co_u32_e32 v32, vcc, v7, v32, vcc
	global_load_dwordx2 v[33:34], v[31:32], off
	s_waitcnt vmcnt(0)
	v_fma_f64 v[33:34], v[1:2], v[5:6], v[33:34]
	global_store_dwordx2 v[31:32], v[33:34], off
	s_branch .LBB72_42
.LBB72_87:
	s_movk_i32 s0, 0xff
	v_cmp_eq_u32_e32 vcc, s0, v0
	s_and_b64 exec, exec, vcc
	s_cbranch_execz .LBB72_89
; %bb.88:
	v_mul_f64 v[0:1], v[1:2], v[5:6]
	s_mov_b32 s7, 0
	s_lshl_b64 s[0:1], s[6:7], 2
	s_waitcnt lgkmcnt(0)
	s_add_u32 s0, s24, s0
	s_addc_u32 s1, s25, s1
	s_lshl_b64 s[2:3], s[6:7], 3
	v_mov_b32_e32 v2, 0
	s_add_u32 s2, s26, s2
	s_addc_u32 s3, s27, s3
	global_store_dword v2, v3, s[0:1] glc slc
	global_store_dwordx2 v2, v[0:1], s[2:3] glc slc
.LBB72_89:
	s_endpgm
	.section	.rodata,"a",@progbits
	.p2align	6, 0x0
	.amdhsa_kernel _ZN9rocsparseL26coomvn_aos_segmented_loopsILj256EifdddEEvlT0_NS_24const_host_device_scalarIT4_EEPKS1_PKT1_PKT2_PT3_PS1_PS3_21rocsparse_index_base_b
		.amdhsa_group_segment_fixed_size 3072
		.amdhsa_private_segment_fixed_size 0
		.amdhsa_kernarg_size 80
		.amdhsa_user_sgpr_count 6
		.amdhsa_user_sgpr_private_segment_buffer 1
		.amdhsa_user_sgpr_dispatch_ptr 0
		.amdhsa_user_sgpr_queue_ptr 0
		.amdhsa_user_sgpr_kernarg_segment_ptr 1
		.amdhsa_user_sgpr_dispatch_id 0
		.amdhsa_user_sgpr_flat_scratch_init 0
		.amdhsa_user_sgpr_private_segment_size 0
		.amdhsa_uses_dynamic_stack 0
		.amdhsa_system_sgpr_private_segment_wavefront_offset 0
		.amdhsa_system_sgpr_workgroup_id_x 1
		.amdhsa_system_sgpr_workgroup_id_y 0
		.amdhsa_system_sgpr_workgroup_id_z 0
		.amdhsa_system_sgpr_workgroup_info 0
		.amdhsa_system_vgpr_workitem_id 0
		.amdhsa_next_free_vgpr 35
		.amdhsa_next_free_sgpr 43
		.amdhsa_reserve_vcc 1
		.amdhsa_reserve_flat_scratch 0
		.amdhsa_float_round_mode_32 0
		.amdhsa_float_round_mode_16_64 0
		.amdhsa_float_denorm_mode_32 3
		.amdhsa_float_denorm_mode_16_64 3
		.amdhsa_dx10_clamp 1
		.amdhsa_ieee_mode 1
		.amdhsa_fp16_overflow 0
		.amdhsa_exception_fp_ieee_invalid_op 0
		.amdhsa_exception_fp_denorm_src 0
		.amdhsa_exception_fp_ieee_div_zero 0
		.amdhsa_exception_fp_ieee_overflow 0
		.amdhsa_exception_fp_ieee_underflow 0
		.amdhsa_exception_fp_ieee_inexact 0
		.amdhsa_exception_int_div_zero 0
	.end_amdhsa_kernel
	.section	.text._ZN9rocsparseL26coomvn_aos_segmented_loopsILj256EifdddEEvlT0_NS_24const_host_device_scalarIT4_EEPKS1_PKT1_PKT2_PT3_PS1_PS3_21rocsparse_index_base_b,"axG",@progbits,_ZN9rocsparseL26coomvn_aos_segmented_loopsILj256EifdddEEvlT0_NS_24const_host_device_scalarIT4_EEPKS1_PKT1_PKT2_PT3_PS1_PS3_21rocsparse_index_base_b,comdat
.Lfunc_end72:
	.size	_ZN9rocsparseL26coomvn_aos_segmented_loopsILj256EifdddEEvlT0_NS_24const_host_device_scalarIT4_EEPKS1_PKT1_PKT2_PT3_PS1_PS3_21rocsparse_index_base_b, .Lfunc_end72-_ZN9rocsparseL26coomvn_aos_segmented_loopsILj256EifdddEEvlT0_NS_24const_host_device_scalarIT4_EEPKS1_PKT1_PKT2_PT3_PS1_PS3_21rocsparse_index_base_b
                                        ; -- End function
	.set _ZN9rocsparseL26coomvn_aos_segmented_loopsILj256EifdddEEvlT0_NS_24const_host_device_scalarIT4_EEPKS1_PKT1_PKT2_PT3_PS1_PS3_21rocsparse_index_base_b.num_vgpr, 35
	.set _ZN9rocsparseL26coomvn_aos_segmented_loopsILj256EifdddEEvlT0_NS_24const_host_device_scalarIT4_EEPKS1_PKT1_PKT2_PT3_PS1_PS3_21rocsparse_index_base_b.num_agpr, 0
	.set _ZN9rocsparseL26coomvn_aos_segmented_loopsILj256EifdddEEvlT0_NS_24const_host_device_scalarIT4_EEPKS1_PKT1_PKT2_PT3_PS1_PS3_21rocsparse_index_base_b.numbered_sgpr, 43
	.set _ZN9rocsparseL26coomvn_aos_segmented_loopsILj256EifdddEEvlT0_NS_24const_host_device_scalarIT4_EEPKS1_PKT1_PKT2_PT3_PS1_PS3_21rocsparse_index_base_b.num_named_barrier, 0
	.set _ZN9rocsparseL26coomvn_aos_segmented_loopsILj256EifdddEEvlT0_NS_24const_host_device_scalarIT4_EEPKS1_PKT1_PKT2_PT3_PS1_PS3_21rocsparse_index_base_b.private_seg_size, 0
	.set _ZN9rocsparseL26coomvn_aos_segmented_loopsILj256EifdddEEvlT0_NS_24const_host_device_scalarIT4_EEPKS1_PKT1_PKT2_PT3_PS1_PS3_21rocsparse_index_base_b.uses_vcc, 1
	.set _ZN9rocsparseL26coomvn_aos_segmented_loopsILj256EifdddEEvlT0_NS_24const_host_device_scalarIT4_EEPKS1_PKT1_PKT2_PT3_PS1_PS3_21rocsparse_index_base_b.uses_flat_scratch, 0
	.set _ZN9rocsparseL26coomvn_aos_segmented_loopsILj256EifdddEEvlT0_NS_24const_host_device_scalarIT4_EEPKS1_PKT1_PKT2_PT3_PS1_PS3_21rocsparse_index_base_b.has_dyn_sized_stack, 0
	.set _ZN9rocsparseL26coomvn_aos_segmented_loopsILj256EifdddEEvlT0_NS_24const_host_device_scalarIT4_EEPKS1_PKT1_PKT2_PT3_PS1_PS3_21rocsparse_index_base_b.has_recursion, 0
	.set _ZN9rocsparseL26coomvn_aos_segmented_loopsILj256EifdddEEvlT0_NS_24const_host_device_scalarIT4_EEPKS1_PKT1_PKT2_PT3_PS1_PS3_21rocsparse_index_base_b.has_indirect_call, 0
	.section	.AMDGPU.csdata,"",@progbits
; Kernel info:
; codeLenInByte = 2588
; TotalNumSgprs: 47
; NumVgprs: 35
; ScratchSize: 0
; MemoryBound: 0
; FloatMode: 240
; IeeeMode: 1
; LDSByteSize: 3072 bytes/workgroup (compile time only)
; SGPRBlocks: 5
; VGPRBlocks: 8
; NumSGPRsForWavesPerEU: 47
; NumVGPRsForWavesPerEU: 35
; Occupancy: 7
; WaveLimiterHint : 1
; COMPUTE_PGM_RSRC2:SCRATCH_EN: 0
; COMPUTE_PGM_RSRC2:USER_SGPR: 6
; COMPUTE_PGM_RSRC2:TRAP_HANDLER: 0
; COMPUTE_PGM_RSRC2:TGID_X_EN: 1
; COMPUTE_PGM_RSRC2:TGID_Y_EN: 0
; COMPUTE_PGM_RSRC2:TGID_Z_EN: 0
; COMPUTE_PGM_RSRC2:TIDIG_COMP_CNT: 0
	.section	.text._ZN9rocsparseL23coomvn_aos_atomic_loopsILj256ELj1ElfdddEEvlNS_24const_host_device_scalarIT5_EEPKT1_PKT2_PKT3_PT4_21rocsparse_index_base_b,"axG",@progbits,_ZN9rocsparseL23coomvn_aos_atomic_loopsILj256ELj1ElfdddEEvlNS_24const_host_device_scalarIT5_EEPKT1_PKT2_PKT3_PT4_21rocsparse_index_base_b,comdat
	.globl	_ZN9rocsparseL23coomvn_aos_atomic_loopsILj256ELj1ElfdddEEvlNS_24const_host_device_scalarIT5_EEPKT1_PKT2_PKT3_PT4_21rocsparse_index_base_b ; -- Begin function _ZN9rocsparseL23coomvn_aos_atomic_loopsILj256ELj1ElfdddEEvlNS_24const_host_device_scalarIT5_EEPKT1_PKT2_PKT3_PT4_21rocsparse_index_base_b
	.p2align	8
	.type	_ZN9rocsparseL23coomvn_aos_atomic_loopsILj256ELj1ElfdddEEvlNS_24const_host_device_scalarIT5_EEPKT1_PKT2_PKT3_PT4_21rocsparse_index_base_b,@function
_ZN9rocsparseL23coomvn_aos_atomic_loopsILj256ELj1ElfdddEEvlNS_24const_host_device_scalarIT5_EEPKT1_PKT2_PKT3_PT4_21rocsparse_index_base_b: ; @_ZN9rocsparseL23coomvn_aos_atomic_loopsILj256ELj1ElfdddEEvlNS_24const_host_device_scalarIT5_EEPKT1_PKT2_PKT3_PT4_21rocsparse_index_base_b
; %bb.0:
	s_load_dwordx2 s[8:9], s[4:5], 0x30
	s_load_dwordx4 s[0:3], s[4:5], 0x0
	s_waitcnt lgkmcnt(0)
	s_bitcmp1_b32 s9, 0
	s_cselect_b64 s[10:11], -1, 0
	v_mov_b32_e32 v6, s3
	s_and_b64 vcc, exec, s[10:11]
	v_mov_b32_e32 v5, s2
	s_cbranch_vccnz .LBB73_2
; %bb.1:
	v_mov_b32_e32 v1, s2
	v_mov_b32_e32 v2, s3
	flat_load_dwordx2 v[5:6], v[1:2]
.LBB73_2:
	s_waitcnt vmcnt(0) lgkmcnt(0)
	v_cmp_neq_f64_e32 vcc, 0, v[5:6]
	s_and_saveexec_b64 s[2:3], vcc
	s_cbranch_execz .LBB73_44
; %bb.3:
	v_lshl_or_b32 v1, s6, 8, v0
	v_mov_b32_e32 v2, 0
	v_cmp_gt_i64_e32 vcc, s[0:1], v[1:2]
	v_mov_b32_e32 v9, -1
	v_mov_b32_e32 v7, 0
	v_mov_b32_e32 v10, -1
	v_mov_b32_e32 v8, 0
	s_and_saveexec_b64 s[0:1], vcc
	s_cbranch_execz .LBB73_5
; %bb.4:
	s_load_dwordx4 s[12:15], s[4:5], 0x10
	s_load_dwordx2 s[2:3], s[4:5], 0x20
	v_lshlrev_b64 v[3:4], 4, v[1:2]
	v_lshlrev_b64 v[1:2], 2, v[1:2]
	s_waitcnt lgkmcnt(0)
	v_mov_b32_e32 v7, s13
	v_add_co_u32_e32 v3, vcc, s12, v3
	v_addc_co_u32_e32 v4, vcc, v7, v4, vcc
	global_load_dwordx4 v[9:12], v[3:4], off glc slc
	v_mov_b32_e32 v3, s15
	v_add_co_u32_e32 v1, vcc, s14, v1
	v_addc_co_u32_e32 v2, vcc, v3, v2, vcc
	global_load_dword v3, v[1:2], off glc slc
	v_mov_b32_e32 v4, s3
	s_waitcnt vmcnt(1)
	v_subrev_co_u32_e32 v1, vcc, s8, v11
	v_subbrev_co_u32_e32 v2, vcc, 0, v12, vcc
	v_lshlrev_b64 v[1:2], 3, v[1:2]
	v_add_co_u32_e32 v1, vcc, s2, v1
	v_addc_co_u32_e32 v2, vcc, v4, v2, vcc
	global_load_dwordx2 v[1:2], v[1:2], off
	s_waitcnt vmcnt(1)
	v_cvt_f64_f32_e32 v[3:4], v3
	v_subrev_co_u32_e32 v9, vcc, s8, v9
	v_subbrev_co_u32_e32 v10, vcc, 0, v10, vcc
	s_waitcnt vmcnt(0)
	v_mul_f64 v[7:8], v[1:2], v[3:4]
.LBB73_5:
	s_or_b64 exec, exec, s[0:1]
	v_lshlrev_b32_e32 v1, 3, v0
	v_or_b32_e32 v2, 0x800, v1
	v_cmp_ne_u32_e32 vcc, 0, v0
	ds_write2st64_b64 v1, v[9:10], v[7:8] offset1:4
	s_waitcnt lgkmcnt(0)
	s_barrier
	s_and_saveexec_b64 s[0:1], vcc
	s_cbranch_execz .LBB73_9
; %bb.6:
	v_add_u32_e32 v3, -8, v1
	ds_read_b64 v[3:4], v3
	s_waitcnt lgkmcnt(0)
	v_cmp_eq_u64_e32 vcc, v[9:10], v[3:4]
	s_and_saveexec_b64 s[2:3], vcc
	s_cbranch_execz .LBB73_8
; %bb.7:
	v_add_u32_e32 v3, -8, v2
	ds_read_b64 v[3:4], v3
	s_waitcnt lgkmcnt(0)
	v_add_f64 v[7:8], v[7:8], v[3:4]
.LBB73_8:
	s_or_b64 exec, exec, s[2:3]
.LBB73_9:
	s_or_b64 exec, exec, s[0:1]
	v_cmp_lt_u32_e32 vcc, 1, v0
	s_barrier
	ds_write_b64 v2, v[7:8]
	s_waitcnt lgkmcnt(0)
	s_barrier
	s_and_saveexec_b64 s[0:1], vcc
	s_cbranch_execz .LBB73_13
; %bb.10:
	v_add_u32_e32 v3, -16, v1
	ds_read_b64 v[3:4], v3
	s_waitcnt lgkmcnt(0)
	v_cmp_eq_u64_e32 vcc, v[9:10], v[3:4]
	s_and_saveexec_b64 s[2:3], vcc
	s_cbranch_execz .LBB73_12
; %bb.11:
	v_add_u32_e32 v3, -16, v2
	ds_read_b64 v[3:4], v3
	s_waitcnt lgkmcnt(0)
	v_add_f64 v[7:8], v[7:8], v[3:4]
.LBB73_12:
	s_or_b64 exec, exec, s[2:3]
.LBB73_13:
	s_or_b64 exec, exec, s[0:1]
	v_cmp_lt_u32_e32 vcc, 3, v0
	s_barrier
	ds_write_b64 v2, v[7:8]
	s_waitcnt lgkmcnt(0)
	s_barrier
	s_and_saveexec_b64 s[0:1], vcc
	s_cbranch_execz .LBB73_17
; %bb.14:
	v_subrev_u32_e32 v3, 32, v1
	ds_read_b64 v[3:4], v3
	s_waitcnt lgkmcnt(0)
	v_cmp_eq_u64_e32 vcc, v[9:10], v[3:4]
	s_and_saveexec_b64 s[2:3], vcc
	s_cbranch_execz .LBB73_16
; %bb.15:
	v_subrev_u32_e32 v3, 32, v2
	ds_read_b64 v[3:4], v3
	s_waitcnt lgkmcnt(0)
	v_add_f64 v[7:8], v[7:8], v[3:4]
.LBB73_16:
	s_or_b64 exec, exec, s[2:3]
.LBB73_17:
	s_or_b64 exec, exec, s[0:1]
	v_cmp_lt_u32_e32 vcc, 7, v0
	s_barrier
	ds_write_b64 v2, v[7:8]
	s_waitcnt lgkmcnt(0)
	s_barrier
	s_and_saveexec_b64 s[0:1], vcc
	s_cbranch_execz .LBB73_21
; %bb.18:
	v_subrev_u32_e32 v3, 64, v1
	ds_read_b64 v[3:4], v3
	s_waitcnt lgkmcnt(0)
	v_cmp_eq_u64_e32 vcc, v[9:10], v[3:4]
	s_and_saveexec_b64 s[2:3], vcc
	s_cbranch_execz .LBB73_20
; %bb.19:
	v_subrev_u32_e32 v3, 64, v2
	ds_read_b64 v[3:4], v3
	s_waitcnt lgkmcnt(0)
	v_add_f64 v[7:8], v[7:8], v[3:4]
.LBB73_20:
	s_or_b64 exec, exec, s[2:3]
.LBB73_21:
	s_or_b64 exec, exec, s[0:1]
	v_cmp_lt_u32_e32 vcc, 15, v0
	s_barrier
	ds_write_b64 v2, v[7:8]
	s_waitcnt lgkmcnt(0)
	s_barrier
	s_and_saveexec_b64 s[0:1], vcc
	s_cbranch_execz .LBB73_25
; %bb.22:
	v_add_u32_e32 v3, 0xffffff80, v1
	ds_read_b64 v[3:4], v3
	s_waitcnt lgkmcnt(0)
	v_cmp_eq_u64_e32 vcc, v[9:10], v[3:4]
	s_and_saveexec_b64 s[2:3], vcc
	s_cbranch_execz .LBB73_24
; %bb.23:
	v_add_u32_e32 v3, 0xffffff80, v2
	ds_read_b64 v[3:4], v3
	s_waitcnt lgkmcnt(0)
	v_add_f64 v[7:8], v[7:8], v[3:4]
.LBB73_24:
	s_or_b64 exec, exec, s[2:3]
.LBB73_25:
	s_or_b64 exec, exec, s[0:1]
	v_cmp_lt_u32_e32 vcc, 31, v0
	s_barrier
	ds_write_b64 v2, v[7:8]
	s_waitcnt lgkmcnt(0)
	s_barrier
	s_and_saveexec_b64 s[0:1], vcc
	s_cbranch_execz .LBB73_29
; %bb.26:
	v_add_u32_e32 v3, 0xffffff00, v1
	ds_read_b64 v[3:4], v3
	s_waitcnt lgkmcnt(0)
	v_cmp_eq_u64_e32 vcc, v[9:10], v[3:4]
	s_and_saveexec_b64 s[2:3], vcc
	s_cbranch_execz .LBB73_28
; %bb.27:
	v_add_u32_e32 v3, 0xffffff00, v2
	ds_read_b64 v[3:4], v3
	s_waitcnt lgkmcnt(0)
	v_add_f64 v[7:8], v[7:8], v[3:4]
.LBB73_28:
	s_or_b64 exec, exec, s[2:3]
.LBB73_29:
	;; [unrolled: 23-line block ×3, first 2 shown]
	s_or_b64 exec, exec, s[0:1]
	s_load_dwordx2 s[2:3], s[4:5], 0x28
	s_movk_i32 s0, 0x7f
	v_cmp_lt_u32_e32 vcc, s0, v0
	s_waitcnt lgkmcnt(0)
	s_barrier
	ds_write_b64 v2, v[7:8]
	s_waitcnt lgkmcnt(0)
	s_barrier
	s_and_saveexec_b64 s[0:1], vcc
	s_cbranch_execz .LBB73_37
; %bb.34:
	v_add_u32_e32 v3, 0xfffffc00, v1
	ds_read_b64 v[3:4], v3
	s_waitcnt lgkmcnt(0)
	v_cmp_eq_u64_e32 vcc, v[9:10], v[3:4]
	s_and_saveexec_b64 s[4:5], vcc
	s_cbranch_execz .LBB73_36
; %bb.35:
	v_add_u32_e32 v3, 0xfffffc00, v2
	ds_read_b64 v[3:4], v3
	s_waitcnt lgkmcnt(0)
	v_add_f64 v[7:8], v[7:8], v[3:4]
.LBB73_36:
	s_or_b64 exec, exec, s[4:5]
.LBB73_37:
	s_or_b64 exec, exec, s[0:1]
	s_movk_i32 s6, 0xff
	v_cmp_gt_u32_e32 vcc, s6, v0
	s_barrier
	ds_write_b64 v2, v[7:8]
	s_waitcnt lgkmcnt(0)
	s_barrier
	s_and_saveexec_b64 s[4:5], vcc
	s_cbranch_execz .LBB73_41
; %bb.38:
	ds_read_b64 v[1:2], v1 offset:8
	v_cmp_lt_i64_e64 s[0:1], -1, v[9:10]
	s_waitcnt lgkmcnt(0)
	v_cmp_ne_u64_e32 vcc, v[9:10], v[1:2]
	s_and_b64 s[0:1], s[0:1], vcc
	s_and_b64 exec, exec, s[0:1]
	s_cbranch_execz .LBB73_41
; %bb.39:
	v_lshlrev_b64 v[1:2], 3, v[9:10]
	v_mov_b32_e32 v3, s3
	v_add_co_u32_e32 v11, vcc, s2, v1
	v_addc_co_u32_e32 v12, vcc, v3, v2, vcc
	global_load_dwordx2 v[3:4], v[11:12], off
	v_mul_f64 v[13:14], v[5:6], v[7:8]
	s_mov_b64 s[0:1], 0
.LBB73_40:                              ; =>This Inner Loop Header: Depth=1
	s_waitcnt vmcnt(0)
	v_add_f64 v[1:2], v[3:4], v[13:14]
	global_atomic_cmpswap_x2 v[1:2], v[11:12], v[1:4], off glc
	s_waitcnt vmcnt(0)
	v_cmp_eq_u64_e32 vcc, v[1:2], v[3:4]
	v_mov_b32_e32 v4, v2
	s_or_b64 s[0:1], vcc, s[0:1]
	v_mov_b32_e32 v3, v1
	s_andn2_b64 exec, exec, s[0:1]
	s_cbranch_execnz .LBB73_40
.LBB73_41:
	s_or_b64 exec, exec, s[4:5]
	v_cmp_lt_i64_e32 vcc, -1, v[9:10]
	v_cmp_eq_u32_e64 s[0:1], s6, v0
	s_and_b64 s[0:1], s[0:1], vcc
	s_and_b64 exec, exec, s[0:1]
	s_cbranch_execz .LBB73_44
; %bb.42:
	v_lshlrev_b64 v[0:1], 3, v[9:10]
	v_mov_b32_e32 v2, s3
	v_add_co_u32_e32 v9, vcc, s2, v0
	v_addc_co_u32_e32 v10, vcc, v2, v1, vcc
	global_load_dwordx2 v[2:3], v[9:10], off
	v_mul_f64 v[4:5], v[5:6], v[7:8]
	s_mov_b64 s[0:1], 0
.LBB73_43:                              ; =>This Inner Loop Header: Depth=1
	s_waitcnt vmcnt(0)
	v_add_f64 v[0:1], v[2:3], v[4:5]
	global_atomic_cmpswap_x2 v[0:1], v[9:10], v[0:3], off glc
	s_waitcnt vmcnt(0)
	v_cmp_eq_u64_e32 vcc, v[0:1], v[2:3]
	v_mov_b32_e32 v3, v1
	s_or_b64 s[0:1], vcc, s[0:1]
	v_mov_b32_e32 v2, v0
	s_andn2_b64 exec, exec, s[0:1]
	s_cbranch_execnz .LBB73_43
.LBB73_44:
	s_endpgm
	.section	.rodata,"a",@progbits
	.p2align	6, 0x0
	.amdhsa_kernel _ZN9rocsparseL23coomvn_aos_atomic_loopsILj256ELj1ElfdddEEvlNS_24const_host_device_scalarIT5_EEPKT1_PKT2_PKT3_PT4_21rocsparse_index_base_b
		.amdhsa_group_segment_fixed_size 4096
		.amdhsa_private_segment_fixed_size 0
		.amdhsa_kernarg_size 56
		.amdhsa_user_sgpr_count 6
		.amdhsa_user_sgpr_private_segment_buffer 1
		.amdhsa_user_sgpr_dispatch_ptr 0
		.amdhsa_user_sgpr_queue_ptr 0
		.amdhsa_user_sgpr_kernarg_segment_ptr 1
		.amdhsa_user_sgpr_dispatch_id 0
		.amdhsa_user_sgpr_flat_scratch_init 0
		.amdhsa_user_sgpr_private_segment_size 0
		.amdhsa_uses_dynamic_stack 0
		.amdhsa_system_sgpr_private_segment_wavefront_offset 0
		.amdhsa_system_sgpr_workgroup_id_x 1
		.amdhsa_system_sgpr_workgroup_id_y 0
		.amdhsa_system_sgpr_workgroup_id_z 0
		.amdhsa_system_sgpr_workgroup_info 0
		.amdhsa_system_vgpr_workitem_id 0
		.amdhsa_next_free_vgpr 15
		.amdhsa_next_free_sgpr 16
		.amdhsa_reserve_vcc 1
		.amdhsa_reserve_flat_scratch 0
		.amdhsa_float_round_mode_32 0
		.amdhsa_float_round_mode_16_64 0
		.amdhsa_float_denorm_mode_32 3
		.amdhsa_float_denorm_mode_16_64 3
		.amdhsa_dx10_clamp 1
		.amdhsa_ieee_mode 1
		.amdhsa_fp16_overflow 0
		.amdhsa_exception_fp_ieee_invalid_op 0
		.amdhsa_exception_fp_denorm_src 0
		.amdhsa_exception_fp_ieee_div_zero 0
		.amdhsa_exception_fp_ieee_overflow 0
		.amdhsa_exception_fp_ieee_underflow 0
		.amdhsa_exception_fp_ieee_inexact 0
		.amdhsa_exception_int_div_zero 0
	.end_amdhsa_kernel
	.section	.text._ZN9rocsparseL23coomvn_aos_atomic_loopsILj256ELj1ElfdddEEvlNS_24const_host_device_scalarIT5_EEPKT1_PKT2_PKT3_PT4_21rocsparse_index_base_b,"axG",@progbits,_ZN9rocsparseL23coomvn_aos_atomic_loopsILj256ELj1ElfdddEEvlNS_24const_host_device_scalarIT5_EEPKT1_PKT2_PKT3_PT4_21rocsparse_index_base_b,comdat
.Lfunc_end73:
	.size	_ZN9rocsparseL23coomvn_aos_atomic_loopsILj256ELj1ElfdddEEvlNS_24const_host_device_scalarIT5_EEPKT1_PKT2_PKT3_PT4_21rocsparse_index_base_b, .Lfunc_end73-_ZN9rocsparseL23coomvn_aos_atomic_loopsILj256ELj1ElfdddEEvlNS_24const_host_device_scalarIT5_EEPKT1_PKT2_PKT3_PT4_21rocsparse_index_base_b
                                        ; -- End function
	.set _ZN9rocsparseL23coomvn_aos_atomic_loopsILj256ELj1ElfdddEEvlNS_24const_host_device_scalarIT5_EEPKT1_PKT2_PKT3_PT4_21rocsparse_index_base_b.num_vgpr, 15
	.set _ZN9rocsparseL23coomvn_aos_atomic_loopsILj256ELj1ElfdddEEvlNS_24const_host_device_scalarIT5_EEPKT1_PKT2_PKT3_PT4_21rocsparse_index_base_b.num_agpr, 0
	.set _ZN9rocsparseL23coomvn_aos_atomic_loopsILj256ELj1ElfdddEEvlNS_24const_host_device_scalarIT5_EEPKT1_PKT2_PKT3_PT4_21rocsparse_index_base_b.numbered_sgpr, 16
	.set _ZN9rocsparseL23coomvn_aos_atomic_loopsILj256ELj1ElfdddEEvlNS_24const_host_device_scalarIT5_EEPKT1_PKT2_PKT3_PT4_21rocsparse_index_base_b.num_named_barrier, 0
	.set _ZN9rocsparseL23coomvn_aos_atomic_loopsILj256ELj1ElfdddEEvlNS_24const_host_device_scalarIT5_EEPKT1_PKT2_PKT3_PT4_21rocsparse_index_base_b.private_seg_size, 0
	.set _ZN9rocsparseL23coomvn_aos_atomic_loopsILj256ELj1ElfdddEEvlNS_24const_host_device_scalarIT5_EEPKT1_PKT2_PKT3_PT4_21rocsparse_index_base_b.uses_vcc, 1
	.set _ZN9rocsparseL23coomvn_aos_atomic_loopsILj256ELj1ElfdddEEvlNS_24const_host_device_scalarIT5_EEPKT1_PKT2_PKT3_PT4_21rocsparse_index_base_b.uses_flat_scratch, 0
	.set _ZN9rocsparseL23coomvn_aos_atomic_loopsILj256ELj1ElfdddEEvlNS_24const_host_device_scalarIT5_EEPKT1_PKT2_PKT3_PT4_21rocsparse_index_base_b.has_dyn_sized_stack, 0
	.set _ZN9rocsparseL23coomvn_aos_atomic_loopsILj256ELj1ElfdddEEvlNS_24const_host_device_scalarIT5_EEPKT1_PKT2_PKT3_PT4_21rocsparse_index_base_b.has_recursion, 0
	.set _ZN9rocsparseL23coomvn_aos_atomic_loopsILj256ELj1ElfdddEEvlNS_24const_host_device_scalarIT5_EEPKT1_PKT2_PKT3_PT4_21rocsparse_index_base_b.has_indirect_call, 0
	.section	.AMDGPU.csdata,"",@progbits
; Kernel info:
; codeLenInByte = 1336
; TotalNumSgprs: 20
; NumVgprs: 15
; ScratchSize: 0
; MemoryBound: 0
; FloatMode: 240
; IeeeMode: 1
; LDSByteSize: 4096 bytes/workgroup (compile time only)
; SGPRBlocks: 2
; VGPRBlocks: 3
; NumSGPRsForWavesPerEU: 20
; NumVGPRsForWavesPerEU: 15
; Occupancy: 10
; WaveLimiterHint : 1
; COMPUTE_PGM_RSRC2:SCRATCH_EN: 0
; COMPUTE_PGM_RSRC2:USER_SGPR: 6
; COMPUTE_PGM_RSRC2:TRAP_HANDLER: 0
; COMPUTE_PGM_RSRC2:TGID_X_EN: 1
; COMPUTE_PGM_RSRC2:TGID_Y_EN: 0
; COMPUTE_PGM_RSRC2:TGID_Z_EN: 0
; COMPUTE_PGM_RSRC2:TIDIG_COMP_CNT: 0
	.section	.text._ZN9rocsparseL17coomvt_aos_kernelILj1024ElfdddEEv20rocsparse_operation_lNS_24const_host_device_scalarIT4_EEPKT0_PKT1_PKT2_PT3_21rocsparse_index_base_b,"axG",@progbits,_ZN9rocsparseL17coomvt_aos_kernelILj1024ElfdddEEv20rocsparse_operation_lNS_24const_host_device_scalarIT4_EEPKT0_PKT1_PKT2_PT3_21rocsparse_index_base_b,comdat
	.globl	_ZN9rocsparseL17coomvt_aos_kernelILj1024ElfdddEEv20rocsparse_operation_lNS_24const_host_device_scalarIT4_EEPKT0_PKT1_PKT2_PT3_21rocsparse_index_base_b ; -- Begin function _ZN9rocsparseL17coomvt_aos_kernelILj1024ElfdddEEv20rocsparse_operation_lNS_24const_host_device_scalarIT4_EEPKT0_PKT1_PKT2_PT3_21rocsparse_index_base_b
	.p2align	8
	.type	_ZN9rocsparseL17coomvt_aos_kernelILj1024ElfdddEEv20rocsparse_operation_lNS_24const_host_device_scalarIT4_EEPKT0_PKT1_PKT2_PT3_21rocsparse_index_base_b,@function
_ZN9rocsparseL17coomvt_aos_kernelILj1024ElfdddEEv20rocsparse_operation_lNS_24const_host_device_scalarIT4_EEPKT0_PKT1_PKT2_PT3_21rocsparse_index_base_b: ; @_ZN9rocsparseL17coomvt_aos_kernelILj1024ElfdddEEv20rocsparse_operation_lNS_24const_host_device_scalarIT4_EEPKT0_PKT1_PKT2_PT3_21rocsparse_index_base_b
; %bb.0:
	s_load_dwordx2 s[16:17], s[4:5], 0x38
	s_load_dwordx4 s[0:3], s[4:5], 0x8
	s_waitcnt lgkmcnt(0)
	s_bitcmp1_b32 s17, 0
	s_cselect_b64 s[8:9], -1, 0
	v_mov_b32_e32 v5, s3
	s_and_b64 vcc, exec, s[8:9]
	v_mov_b32_e32 v4, s2
	s_cbranch_vccnz .LBB74_2
; %bb.1:
	v_mov_b32_e32 v1, s2
	v_mov_b32_e32 v2, s3
	flat_load_dwordx2 v[4:5], v[1:2]
.LBB74_2:
	s_waitcnt vmcnt(0) lgkmcnt(0)
	v_cmp_neq_f64_e32 vcc, 0, v[4:5]
	s_and_saveexec_b64 s[2:3], vcc
	s_cbranch_execz .LBB74_6
; %bb.3:
	s_load_dword s2, s[4:5], 0x4c
	v_mov_b32_e32 v1, 0
	s_waitcnt lgkmcnt(0)
	s_and_b32 s2, s2, 0xffff
	s_mul_i32 s6, s6, s2
	v_add_u32_e32 v0, s6, v0
	v_cmp_gt_i64_e32 vcc, s[0:1], v[0:1]
	s_and_b64 exec, exec, vcc
	s_cbranch_execz .LBB74_6
; %bb.4:
	s_load_dwordx8 s[8:15], s[4:5], 0x18
	v_lshlrev_b64 v[2:3], 4, v[0:1]
	v_lshlrev_b64 v[0:1], 2, v[0:1]
	s_mov_b64 s[0:1], 0
	s_waitcnt lgkmcnt(0)
	v_mov_b32_e32 v6, s9
	v_add_co_u32_e32 v2, vcc, s8, v2
	v_addc_co_u32_e32 v3, vcc, v6, v3, vcc
	global_load_dwordx4 v[6:9], v[2:3], off
	v_mov_b32_e32 v2, s11
	v_add_co_u32_e32 v0, vcc, s10, v0
	v_addc_co_u32_e32 v1, vcc, v2, v1, vcc
	global_load_dword v10, v[0:1], off
	v_mov_b32_e32 v3, s13
	s_waitcnt vmcnt(1)
	v_subrev_co_u32_e32 v0, vcc, s16, v6
	v_subbrev_co_u32_e32 v1, vcc, 0, v7, vcc
	v_lshlrev_b64 v[0:1], 3, v[0:1]
	v_mov_b32_e32 v7, s15
	v_add_co_u32_e32 v0, vcc, s12, v0
	v_addc_co_u32_e32 v1, vcc, v3, v1, vcc
	global_load_dwordx2 v[0:1], v[0:1], off
	v_subrev_co_u32_e32 v2, vcc, s16, v8
	v_subbrev_co_u32_e32 v3, vcc, 0, v9, vcc
	v_lshlrev_b64 v[2:3], 3, v[2:3]
	s_waitcnt vmcnt(1)
	v_cvt_f64_f32_e32 v[8:9], v10
	v_add_co_u32_e32 v6, vcc, s14, v2
	v_addc_co_u32_e32 v7, vcc, v7, v3, vcc
	global_load_dwordx2 v[2:3], v[6:7], off
	v_mul_f64 v[4:5], v[4:5], v[8:9]
	s_waitcnt vmcnt(1)
	v_mul_f64 v[4:5], v[0:1], v[4:5]
.LBB74_5:                               ; =>This Inner Loop Header: Depth=1
	s_waitcnt vmcnt(0)
	v_add_f64 v[0:1], v[2:3], v[4:5]
	global_atomic_cmpswap_x2 v[0:1], v[6:7], v[0:3], off glc
	s_waitcnt vmcnt(0)
	v_cmp_eq_u64_e32 vcc, v[0:1], v[2:3]
	v_mov_b32_e32 v3, v1
	s_or_b64 s[0:1], vcc, s[0:1]
	v_mov_b32_e32 v2, v0
	s_andn2_b64 exec, exec, s[0:1]
	s_cbranch_execnz .LBB74_5
.LBB74_6:
	s_endpgm
	.section	.rodata,"a",@progbits
	.p2align	6, 0x0
	.amdhsa_kernel _ZN9rocsparseL17coomvt_aos_kernelILj1024ElfdddEEv20rocsparse_operation_lNS_24const_host_device_scalarIT4_EEPKT0_PKT1_PKT2_PT3_21rocsparse_index_base_b
		.amdhsa_group_segment_fixed_size 0
		.amdhsa_private_segment_fixed_size 0
		.amdhsa_kernarg_size 320
		.amdhsa_user_sgpr_count 6
		.amdhsa_user_sgpr_private_segment_buffer 1
		.amdhsa_user_sgpr_dispatch_ptr 0
		.amdhsa_user_sgpr_queue_ptr 0
		.amdhsa_user_sgpr_kernarg_segment_ptr 1
		.amdhsa_user_sgpr_dispatch_id 0
		.amdhsa_user_sgpr_flat_scratch_init 0
		.amdhsa_user_sgpr_private_segment_size 0
		.amdhsa_uses_dynamic_stack 0
		.amdhsa_system_sgpr_private_segment_wavefront_offset 0
		.amdhsa_system_sgpr_workgroup_id_x 1
		.amdhsa_system_sgpr_workgroup_id_y 0
		.amdhsa_system_sgpr_workgroup_id_z 0
		.amdhsa_system_sgpr_workgroup_info 0
		.amdhsa_system_vgpr_workitem_id 0
		.amdhsa_next_free_vgpr 11
		.amdhsa_next_free_sgpr 18
		.amdhsa_reserve_vcc 1
		.amdhsa_reserve_flat_scratch 0
		.amdhsa_float_round_mode_32 0
		.amdhsa_float_round_mode_16_64 0
		.amdhsa_float_denorm_mode_32 3
		.amdhsa_float_denorm_mode_16_64 3
		.amdhsa_dx10_clamp 1
		.amdhsa_ieee_mode 1
		.amdhsa_fp16_overflow 0
		.amdhsa_exception_fp_ieee_invalid_op 0
		.amdhsa_exception_fp_denorm_src 0
		.amdhsa_exception_fp_ieee_div_zero 0
		.amdhsa_exception_fp_ieee_overflow 0
		.amdhsa_exception_fp_ieee_underflow 0
		.amdhsa_exception_fp_ieee_inexact 0
		.amdhsa_exception_int_div_zero 0
	.end_amdhsa_kernel
	.section	.text._ZN9rocsparseL17coomvt_aos_kernelILj1024ElfdddEEv20rocsparse_operation_lNS_24const_host_device_scalarIT4_EEPKT0_PKT1_PKT2_PT3_21rocsparse_index_base_b,"axG",@progbits,_ZN9rocsparseL17coomvt_aos_kernelILj1024ElfdddEEv20rocsparse_operation_lNS_24const_host_device_scalarIT4_EEPKT0_PKT1_PKT2_PT3_21rocsparse_index_base_b,comdat
.Lfunc_end74:
	.size	_ZN9rocsparseL17coomvt_aos_kernelILj1024ElfdddEEv20rocsparse_operation_lNS_24const_host_device_scalarIT4_EEPKT0_PKT1_PKT2_PT3_21rocsparse_index_base_b, .Lfunc_end74-_ZN9rocsparseL17coomvt_aos_kernelILj1024ElfdddEEv20rocsparse_operation_lNS_24const_host_device_scalarIT4_EEPKT0_PKT1_PKT2_PT3_21rocsparse_index_base_b
                                        ; -- End function
	.set _ZN9rocsparseL17coomvt_aos_kernelILj1024ElfdddEEv20rocsparse_operation_lNS_24const_host_device_scalarIT4_EEPKT0_PKT1_PKT2_PT3_21rocsparse_index_base_b.num_vgpr, 11
	.set _ZN9rocsparseL17coomvt_aos_kernelILj1024ElfdddEEv20rocsparse_operation_lNS_24const_host_device_scalarIT4_EEPKT0_PKT1_PKT2_PT3_21rocsparse_index_base_b.num_agpr, 0
	.set _ZN9rocsparseL17coomvt_aos_kernelILj1024ElfdddEEv20rocsparse_operation_lNS_24const_host_device_scalarIT4_EEPKT0_PKT1_PKT2_PT3_21rocsparse_index_base_b.numbered_sgpr, 18
	.set _ZN9rocsparseL17coomvt_aos_kernelILj1024ElfdddEEv20rocsparse_operation_lNS_24const_host_device_scalarIT4_EEPKT0_PKT1_PKT2_PT3_21rocsparse_index_base_b.num_named_barrier, 0
	.set _ZN9rocsparseL17coomvt_aos_kernelILj1024ElfdddEEv20rocsparse_operation_lNS_24const_host_device_scalarIT4_EEPKT0_PKT1_PKT2_PT3_21rocsparse_index_base_b.private_seg_size, 0
	.set _ZN9rocsparseL17coomvt_aos_kernelILj1024ElfdddEEv20rocsparse_operation_lNS_24const_host_device_scalarIT4_EEPKT0_PKT1_PKT2_PT3_21rocsparse_index_base_b.uses_vcc, 1
	.set _ZN9rocsparseL17coomvt_aos_kernelILj1024ElfdddEEv20rocsparse_operation_lNS_24const_host_device_scalarIT4_EEPKT0_PKT1_PKT2_PT3_21rocsparse_index_base_b.uses_flat_scratch, 0
	.set _ZN9rocsparseL17coomvt_aos_kernelILj1024ElfdddEEv20rocsparse_operation_lNS_24const_host_device_scalarIT4_EEPKT0_PKT1_PKT2_PT3_21rocsparse_index_base_b.has_dyn_sized_stack, 0
	.set _ZN9rocsparseL17coomvt_aos_kernelILj1024ElfdddEEv20rocsparse_operation_lNS_24const_host_device_scalarIT4_EEPKT0_PKT1_PKT2_PT3_21rocsparse_index_base_b.has_recursion, 0
	.set _ZN9rocsparseL17coomvt_aos_kernelILj1024ElfdddEEv20rocsparse_operation_lNS_24const_host_device_scalarIT4_EEPKT0_PKT1_PKT2_PT3_21rocsparse_index_base_b.has_indirect_call, 0
	.section	.AMDGPU.csdata,"",@progbits
; Kernel info:
; codeLenInByte = 348
; TotalNumSgprs: 22
; NumVgprs: 11
; ScratchSize: 0
; MemoryBound: 0
; FloatMode: 240
; IeeeMode: 1
; LDSByteSize: 0 bytes/workgroup (compile time only)
; SGPRBlocks: 2
; VGPRBlocks: 2
; NumSGPRsForWavesPerEU: 22
; NumVGPRsForWavesPerEU: 11
; Occupancy: 10
; WaveLimiterHint : 1
; COMPUTE_PGM_RSRC2:SCRATCH_EN: 0
; COMPUTE_PGM_RSRC2:USER_SGPR: 6
; COMPUTE_PGM_RSRC2:TRAP_HANDLER: 0
; COMPUTE_PGM_RSRC2:TGID_X_EN: 1
; COMPUTE_PGM_RSRC2:TGID_Y_EN: 0
; COMPUTE_PGM_RSRC2:TGID_Z_EN: 0
; COMPUTE_PGM_RSRC2:TIDIG_COMP_CNT: 0
	.section	.text._ZN9rocsparseL26coomvn_aos_segmented_loopsILj256ElfdddEEvlT0_NS_24const_host_device_scalarIT4_EEPKS1_PKT1_PKT2_PT3_PS1_PS3_21rocsparse_index_base_b,"axG",@progbits,_ZN9rocsparseL26coomvn_aos_segmented_loopsILj256ElfdddEEvlT0_NS_24const_host_device_scalarIT4_EEPKS1_PKT1_PKT2_PT3_PS1_PS3_21rocsparse_index_base_b,comdat
	.globl	_ZN9rocsparseL26coomvn_aos_segmented_loopsILj256ElfdddEEvlT0_NS_24const_host_device_scalarIT4_EEPKS1_PKT1_PKT2_PT3_PS1_PS3_21rocsparse_index_base_b ; -- Begin function _ZN9rocsparseL26coomvn_aos_segmented_loopsILj256ElfdddEEvlT0_NS_24const_host_device_scalarIT4_EEPKS1_PKT1_PKT2_PT3_PS1_PS3_21rocsparse_index_base_b
	.p2align	8
	.type	_ZN9rocsparseL26coomvn_aos_segmented_loopsILj256ElfdddEEvlT0_NS_24const_host_device_scalarIT4_EEPKS1_PKT1_PKT2_PT3_PS1_PS3_21rocsparse_index_base_b,@function
_ZN9rocsparseL26coomvn_aos_segmented_loopsILj256ElfdddEEvlT0_NS_24const_host_device_scalarIT4_EEPKS1_PKT1_PKT2_PT3_PS1_PS3_21rocsparse_index_base_b: ; @_ZN9rocsparseL26coomvn_aos_segmented_loopsILj256ElfdddEEvlT0_NS_24const_host_device_scalarIT4_EEPKS1_PKT1_PKT2_PT3_PS1_PS3_21rocsparse_index_base_b
; %bb.0:
	s_load_dwordx2 s[34:35], s[4:5], 0x48
	s_load_dwordx2 s[0:1], s[4:5], 0x10
	s_waitcnt lgkmcnt(0)
	s_bitcmp1_b32 s35, 0
	s_cselect_b64 s[2:3], -1, 0
	v_mov_b32_e32 v2, s1
	s_and_b64 vcc, exec, s[2:3]
	v_mov_b32_e32 v1, s0
	s_cbranch_vccnz .LBB75_2
; %bb.1:
	v_mov_b32_e32 v2, s1
	v_mov_b32_e32 v1, s0
	flat_load_dwordx2 v[1:2], v[1:2]
.LBB75_2:
	s_waitcnt vmcnt(0) lgkmcnt(0)
	v_cmp_neq_f64_e32 vcc, 0, v[1:2]
	s_and_saveexec_b64 s[0:1], vcc
	s_cbranch_execz .LBB75_89
; %bb.3:
	s_load_dwordx4 s[28:31], s[4:5], 0x0
	s_load_dwordx4 s[36:39], s[4:5], 0x18
	s_load_dwordx2 s[44:45], s[4:5], 0x28
	v_mov_b32_e32 v5, 0
	v_mov_b32_e32 v3, -1
	s_waitcnt lgkmcnt(0)
	s_mul_i32 s1, s6, s31
	s_mul_hi_u32 s2, s6, s30
	s_mul_i32 s0, s6, s30
	s_add_i32 s1, s2, s1
	s_lshl_b64 s[0:1], s[0:1], 8
	v_or_b32_e32 v7, s0, v0
	v_mov_b32_e32 v8, s1
	v_cmp_gt_i64_e32 vcc, s[28:29], v[7:8]
	v_mov_b32_e32 v6, 0
	v_mov_b32_e32 v4, -1
	s_mov_b32 s7, 0
	s_and_saveexec_b64 s[0:1], vcc
	s_cbranch_execz .LBB75_5
; %bb.4:
	v_lshlrev_b64 v[3:4], 4, v[7:8]
	v_mov_b32_e32 v5, s37
	v_add_co_u32_e32 v3, vcc, s36, v3
	v_addc_co_u32_e32 v4, vcc, v5, v4, vcc
	global_load_dwordx4 v[3:6], v[3:4], off glc slc
	v_lshlrev_b64 v[9:10], 2, v[7:8]
	v_mov_b32_e32 v11, s39
	v_add_co_u32_e32 v9, vcc, s38, v9
	v_addc_co_u32_e32 v10, vcc, v11, v10, vcc
	v_mov_b32_e32 v12, s45
	s_ashr_i32 s35, s34, 31
	global_load_dword v9, v[9:10], off glc slc
	s_lshl_b64 s[2:3], s[34:35], 3
	v_mov_b32_e32 v11, s3
	s_waitcnt vmcnt(1)
	v_lshlrev_b64 v[5:6], 3, v[5:6]
	v_add_co_u32_e32 v5, vcc, s44, v5
	v_addc_co_u32_e32 v6, vcc, v12, v6, vcc
	v_subrev_co_u32_e32 v5, vcc, s2, v5
	v_subb_co_u32_e32 v6, vcc, v6, v11, vcc
	global_load_dwordx2 v[5:6], v[5:6], off
	s_waitcnt vmcnt(1)
	v_cvt_f64_f32_e32 v[9:10], v9
	v_subrev_co_u32_e32 v3, vcc, s34, v3
	v_subbrev_co_u32_e32 v4, vcc, 0, v4, vcc
	s_waitcnt vmcnt(0)
	v_mul_f64 v[5:6], v[5:6], v[9:10]
.LBB75_5:
	s_or_b64 exec, exec, s[0:1]
	v_lshlrev_b32_e32 v15, 3, v0
	v_or_b32_e32 v16, 0x800, v15
	v_cmp_eq_u32_e64 s[0:1], 0, v0
	v_cmp_ne_u32_e64 s[2:3], 0, v0
	v_add_u32_e32 v17, -8, v15
	ds_write2st64_b64 v15, v[3:4], v[5:6] offset1:4
	s_waitcnt lgkmcnt(0)
	s_barrier
	s_and_saveexec_b64 s[8:9], s[2:3]
	s_cbranch_execz .LBB75_9
; %bb.6:
	ds_read_b64 v[9:10], v17
	s_waitcnt lgkmcnt(0)
	v_cmp_eq_u64_e32 vcc, v[3:4], v[9:10]
	s_and_saveexec_b64 s[10:11], vcc
	s_cbranch_execz .LBB75_8
; %bb.7:
	v_add_u32_e32 v9, -8, v16
	ds_read_b64 v[9:10], v9
	s_waitcnt lgkmcnt(0)
	v_add_f64 v[5:6], v[5:6], v[9:10]
.LBB75_8:
	s_or_b64 exec, exec, s[10:11]
.LBB75_9:
	s_or_b64 exec, exec, s[8:9]
	v_cmp_lt_u32_e64 s[22:23], 1, v0
	v_add_u32_e32 v18, -16, v15
	s_barrier
	ds_write_b64 v16, v[5:6]
	s_waitcnt lgkmcnt(0)
	s_barrier
	s_and_saveexec_b64 s[8:9], s[22:23]
	s_cbranch_execz .LBB75_13
; %bb.10:
	ds_read_b64 v[9:10], v18
	s_waitcnt lgkmcnt(0)
	v_cmp_eq_u64_e32 vcc, v[3:4], v[9:10]
	s_and_saveexec_b64 s[10:11], vcc
	s_cbranch_execz .LBB75_12
; %bb.11:
	v_add_u32_e32 v9, -16, v16
	ds_read_b64 v[9:10], v9
	s_waitcnt lgkmcnt(0)
	v_add_f64 v[5:6], v[5:6], v[9:10]
.LBB75_12:
	s_or_b64 exec, exec, s[10:11]
.LBB75_13:
	s_or_b64 exec, exec, s[8:9]
	v_cmp_lt_u32_e64 s[8:9], 3, v0
	v_subrev_u32_e32 v19, 32, v15
	s_barrier
	ds_write_b64 v16, v[5:6]
	s_waitcnt lgkmcnt(0)
	s_barrier
	s_and_saveexec_b64 s[10:11], s[8:9]
	s_cbranch_execz .LBB75_17
; %bb.14:
	ds_read_b64 v[9:10], v19
	s_waitcnt lgkmcnt(0)
	v_cmp_eq_u64_e32 vcc, v[3:4], v[9:10]
	s_and_saveexec_b64 s[12:13], vcc
	s_cbranch_execz .LBB75_16
; %bb.15:
	v_subrev_u32_e32 v9, 32, v16
	ds_read_b64 v[9:10], v9
	s_waitcnt lgkmcnt(0)
	v_add_f64 v[5:6], v[5:6], v[9:10]
.LBB75_16:
	s_or_b64 exec, exec, s[12:13]
.LBB75_17:
	s_or_b64 exec, exec, s[10:11]
	v_cmp_lt_u32_e64 s[10:11], 7, v0
	v_subrev_u32_e32 v20, 64, v15
	s_barrier
	ds_write_b64 v16, v[5:6]
	s_waitcnt lgkmcnt(0)
	s_barrier
	s_and_saveexec_b64 s[12:13], s[10:11]
	s_cbranch_execz .LBB75_21
; %bb.18:
	ds_read_b64 v[9:10], v20
	s_waitcnt lgkmcnt(0)
	v_cmp_eq_u64_e32 vcc, v[3:4], v[9:10]
	s_and_saveexec_b64 s[14:15], vcc
	s_cbranch_execz .LBB75_20
; %bb.19:
	v_subrev_u32_e32 v9, 64, v16
	ds_read_b64 v[9:10], v9
	s_waitcnt lgkmcnt(0)
	v_add_f64 v[5:6], v[5:6], v[9:10]
.LBB75_20:
	s_or_b64 exec, exec, s[14:15]
.LBB75_21:
	s_or_b64 exec, exec, s[12:13]
	v_cmp_lt_u32_e64 s[12:13], 15, v0
	s_barrier
	ds_write_b64 v16, v[5:6]
	s_waitcnt lgkmcnt(0)
	s_barrier
	s_and_saveexec_b64 s[14:15], s[12:13]
	s_cbranch_execz .LBB75_25
; %bb.22:
	v_add_u32_e32 v9, 0xffffff80, v15
	ds_read_b64 v[9:10], v9
	s_waitcnt lgkmcnt(0)
	v_cmp_eq_u64_e32 vcc, v[3:4], v[9:10]
	s_and_saveexec_b64 s[16:17], vcc
	s_cbranch_execz .LBB75_24
; %bb.23:
	v_add_u32_e32 v9, 0xffffff80, v16
	ds_read_b64 v[9:10], v9
	s_waitcnt lgkmcnt(0)
	v_add_f64 v[5:6], v[5:6], v[9:10]
.LBB75_24:
	s_or_b64 exec, exec, s[16:17]
.LBB75_25:
	s_or_b64 exec, exec, s[14:15]
	v_cmp_lt_u32_e64 s[14:15], 31, v0
	s_barrier
	ds_write_b64 v16, v[5:6]
	s_waitcnt lgkmcnt(0)
	s_barrier
	s_and_saveexec_b64 s[16:17], s[14:15]
	s_cbranch_execz .LBB75_29
; %bb.26:
	v_add_u32_e32 v9, 0xffffff00, v15
	ds_read_b64 v[9:10], v9
	s_waitcnt lgkmcnt(0)
	v_cmp_eq_u64_e32 vcc, v[3:4], v[9:10]
	s_and_saveexec_b64 s[18:19], vcc
	s_cbranch_execz .LBB75_28
; %bb.27:
	v_add_u32_e32 v9, 0xffffff00, v16
	ds_read_b64 v[9:10], v9
	s_waitcnt lgkmcnt(0)
	v_add_f64 v[5:6], v[5:6], v[9:10]
.LBB75_28:
	s_or_b64 exec, exec, s[18:19]
.LBB75_29:
	;; [unrolled: 23-line block ×3, first 2 shown]
	s_or_b64 exec, exec, s[18:19]
	s_load_dwordx2 s[40:41], s[4:5], 0x30
	s_movk_i32 s18, 0x7f
	v_cmp_lt_u32_e64 s[18:19], s18, v0
	s_waitcnt lgkmcnt(0)
	s_barrier
	ds_write_b64 v16, v[5:6]
	s_waitcnt lgkmcnt(0)
	s_barrier
	s_and_saveexec_b64 s[20:21], s[18:19]
	s_cbranch_execz .LBB75_37
; %bb.34:
	v_add_u32_e32 v9, 0xfffffc00, v15
	ds_read_b64 v[9:10], v9
	s_waitcnt lgkmcnt(0)
	v_cmp_eq_u64_e32 vcc, v[3:4], v[9:10]
	s_and_saveexec_b64 s[24:25], vcc
	s_cbranch_execz .LBB75_36
; %bb.35:
	v_add_u32_e32 v9, 0xfffffc00, v16
	ds_read_b64 v[9:10], v9
	s_waitcnt lgkmcnt(0)
	v_add_f64 v[5:6], v[5:6], v[9:10]
.LBB75_36:
	s_or_b64 exec, exec, s[24:25]
.LBB75_37:
	s_or_b64 exec, exec, s[20:21]
	s_movk_i32 s20, 0xff
	v_cmp_gt_u32_e64 s[20:21], s20, v0
	s_barrier
	ds_write_b64 v16, v[5:6]
	s_waitcnt lgkmcnt(0)
	s_barrier
	s_and_saveexec_b64 s[26:27], s[20:21]
	s_cbranch_execz .LBB75_40
; %bb.38:
	ds_read_b64 v[9:10], v15 offset:8
	v_cmp_lt_i64_e64 s[24:25], -1, v[3:4]
	s_waitcnt lgkmcnt(0)
	v_cmp_ne_u64_e32 vcc, v[3:4], v[9:10]
	s_and_b64 s[24:25], s[24:25], vcc
	s_and_b64 exec, exec, s[24:25]
	s_cbranch_execz .LBB75_40
; %bb.39:
	v_lshlrev_b64 v[9:10], 3, v[3:4]
	v_mov_b32_e32 v11, s41
	v_add_co_u32_e32 v9, vcc, s40, v9
	v_addc_co_u32_e32 v10, vcc, v11, v10, vcc
	global_load_dwordx2 v[11:12], v[9:10], off
	s_waitcnt vmcnt(0)
	v_fma_f64 v[11:12], v[1:2], v[5:6], v[11:12]
	global_store_dwordx2 v[9:10], v[11:12], off
.LBB75_40:
	s_or_b64 exec, exec, s[26:27]
	s_load_dwordx4 s[24:27], s[4:5], 0x38
	v_cmp_lt_i64_e64 s[4:5], s[30:31], 2
	s_and_b64 vcc, exec, s[4:5]
	s_cbranch_vccnz .LBB75_87
; %bb.41:
	s_add_u32 s42, s30, -1
	s_addc_u32 s43, s31, -1
	s_ashr_i32 s35, s34, 31
	s_lshl_b64 s[4:5], s[34:35], 3
	s_sub_u32 s33, s44, s4
	s_subb_u32 s35, s45, s5
	s_mul_i32 s4, s31, s6
	s_mul_hi_u32 s5, s30, s6
	s_add_i32 s5, s5, s4
	s_mul_i32 s4, s30, s6
	s_lshl_b64 s[30:31], s[4:5], 10
	s_add_u32 s30, s38, s30
	s_addc_u32 s31, s39, s31
	s_lshl_b64 s[4:5], s[4:5], 12
	s_add_u32 s4, s36, s4
	v_lshlrev_b32_e32 v4, 4, v0
	s_addc_u32 s5, s37, s5
	v_mov_b32_e32 v5, s5
	v_add_co_u32_e32 v4, vcc, s4, v4
	v_addc_co_u32_e32 v5, vcc, 0, v5, vcc
	s_movk_i32 s4, 0x1008
	v_add_co_u32_e32 v9, vcc, s4, v4
	s_movk_i32 s36, 0x100
	s_mov_b64 s[4:5], vcc
	v_add_co_u32_e32 v7, vcc, s36, v7
	v_lshlrev_b32_e32 v3, 2, v0
	v_addc_co_u32_e32 v8, vcc, 0, v8, vcc
	v_mov_b32_e32 v4, s31
	v_add_co_u32_e32 v3, vcc, s30, v3
	v_addc_co_u32_e32 v4, vcc, 0, v4, vcc
	s_movk_i32 s30, 0x400
	v_add_co_u32_e32 v11, vcc, s30, v3
	v_add_u32_e32 v21, 0xffffff80, v15
	v_add_u32_e32 v22, 0xffffff80, v16
	;; [unrolled: 1-line block ×5, first 2 shown]
	v_addc_co_u32_e32 v12, vcc, 0, v4, vcc
	v_add_u32_e32 v26, 0xfffffe00, v16
	v_addc_co_u32_e64 v10, vcc, 0, v5, s[4:5]
	v_add_u32_e32 v27, 0xfffffc00, v15
	s_mov_b64 s[30:31], 0
	v_add_u32_e32 v28, 0xfffffc00, v16
	v_mov_b32_e32 v29, 0
	s_branch .LBB75_43
.LBB75_42:                              ;   in Loop: Header=BB75_43 Depth=1
	s_or_b64 exec, exec, s[36:37]
	v_add_co_u32_e32 v11, vcc, 0x400, v11
	v_addc_co_u32_e32 v12, vcc, 0, v12, vcc
	s_add_u32 s30, s30, 1
	v_add_co_u32_e32 v9, vcc, 0x1000, v9
	s_addc_u32 s31, s31, 0
	v_mov_b32_e32 v13, s30
	v_addc_co_u32_e32 v10, vcc, 0, v10, vcc
	v_mov_b32_e32 v14, s31
	v_add_co_u32_e32 v7, vcc, 0x100, v7
	v_cmp_le_u64_e64 s[4:5], s[42:43], v[13:14]
	v_addc_co_u32_e32 v8, vcc, 0, v8, vcc
	s_and_b64 vcc, exec, s[4:5]
	s_cbranch_vccnz .LBB75_87
.LBB75_43:                              ; =>This Inner Loop Header: Depth=1
	v_cmp_gt_i64_e32 vcc, s[28:29], v[7:8]
	v_mov_b32_e32 v5, 0
	v_mov_b32_e32 v3, -1
	v_mov_b32_e32 v6, 0
	v_mov_b32_e32 v4, -1
	s_and_saveexec_b64 s[4:5], vcc
	s_cbranch_execz .LBB75_45
; %bb.44:                               ;   in Loop: Header=BB75_43 Depth=1
	global_load_dwordx4 v[3:6], v[9:10], off offset:-8 glc slc
	global_load_dword v13, v[11:12], off glc slc
	v_mov_b32_e32 v14, s35
	s_waitcnt vmcnt(1)
	v_lshlrev_b64 v[5:6], 3, v[5:6]
	v_add_co_u32_e32 v5, vcc, s33, v5
	v_addc_co_u32_e32 v6, vcc, v14, v6, vcc
	global_load_dwordx2 v[5:6], v[5:6], off
	s_waitcnt vmcnt(1)
	v_cvt_f64_f32_e32 v[13:14], v13
	v_subrev_co_u32_e32 v3, vcc, s34, v3
	v_subbrev_co_u32_e32 v4, vcc, 0, v4, vcc
	s_waitcnt vmcnt(0)
	v_mul_f64 v[5:6], v[5:6], v[13:14]
.LBB75_45:                              ;   in Loop: Header=BB75_43 Depth=1
	s_or_b64 exec, exec, s[4:5]
	s_and_saveexec_b64 s[4:5], s[0:1]
	s_cbranch_execz .LBB75_52
; %bb.46:                               ;   in Loop: Header=BB75_43 Depth=1
	ds_read_b64 v[13:14], v29 offset:2040
	s_waitcnt lgkmcnt(0)
	v_cmp_ne_u64_e32 vcc, v[3:4], v[13:14]
	s_and_saveexec_b64 s[36:37], vcc
	s_xor_b64 s[36:37], exec, s[36:37]
	s_cbranch_execz .LBB75_49
; %bb.47:                               ;   in Loop: Header=BB75_43 Depth=1
	v_cmp_gt_i64_e32 vcc, 0, v[13:14]
	s_cbranch_vccnz .LBB75_49
; %bb.48:                               ;   in Loop: Header=BB75_43 Depth=1
	v_lshlrev_b64 v[13:14], 3, v[13:14]
	v_mov_b32_e32 v30, s41
	v_add_co_u32_e32 v13, vcc, s40, v13
	v_addc_co_u32_e32 v14, vcc, v30, v14, vcc
	global_load_dwordx2 v[30:31], v[13:14], off
	ds_read_b64 v[32:33], v29 offset:4088
	s_waitcnt vmcnt(0) lgkmcnt(0)
	v_fma_f64 v[30:31], v[1:2], v[32:33], v[30:31]
	global_store_dwordx2 v[13:14], v[30:31], off
.LBB75_49:                              ;   in Loop: Header=BB75_43 Depth=1
	s_andn2_saveexec_b64 s[36:37], s[36:37]
	s_cbranch_execz .LBB75_51
; %bb.50:                               ;   in Loop: Header=BB75_43 Depth=1
	ds_read_b64 v[13:14], v29 offset:4088
	s_waitcnt lgkmcnt(0)
	v_add_f64 v[5:6], v[5:6], v[13:14]
.LBB75_51:                              ;   in Loop: Header=BB75_43 Depth=1
	s_or_b64 exec, exec, s[36:37]
.LBB75_52:                              ;   in Loop: Header=BB75_43 Depth=1
	s_or_b64 exec, exec, s[4:5]
	s_waitcnt vmcnt(0) lgkmcnt(0)
	s_barrier
	ds_write_b64 v15, v[3:4]
	ds_write_b64 v16, v[5:6]
	s_waitcnt lgkmcnt(0)
	s_barrier
	s_and_saveexec_b64 s[4:5], s[2:3]
	s_cbranch_execz .LBB75_56
; %bb.53:                               ;   in Loop: Header=BB75_43 Depth=1
	ds_read_b64 v[13:14], v17
	s_waitcnt lgkmcnt(0)
	v_cmp_eq_u64_e32 vcc, v[3:4], v[13:14]
	s_and_saveexec_b64 s[36:37], vcc
	s_cbranch_execz .LBB75_55
; %bb.54:                               ;   in Loop: Header=BB75_43 Depth=1
	v_add_u32_e32 v13, -8, v16
	ds_read_b64 v[13:14], v13
	s_waitcnt lgkmcnt(0)
	v_add_f64 v[5:6], v[5:6], v[13:14]
.LBB75_55:                              ;   in Loop: Header=BB75_43 Depth=1
	s_or_b64 exec, exec, s[36:37]
.LBB75_56:                              ;   in Loop: Header=BB75_43 Depth=1
	s_or_b64 exec, exec, s[4:5]
	s_barrier
	ds_write_b64 v16, v[5:6]
	s_waitcnt lgkmcnt(0)
	s_barrier
	s_and_saveexec_b64 s[4:5], s[22:23]
	s_cbranch_execz .LBB75_60
; %bb.57:                               ;   in Loop: Header=BB75_43 Depth=1
	ds_read_b64 v[13:14], v18
	s_waitcnt lgkmcnt(0)
	v_cmp_eq_u64_e32 vcc, v[3:4], v[13:14]
	s_and_saveexec_b64 s[36:37], vcc
	s_cbranch_execz .LBB75_59
; %bb.58:                               ;   in Loop: Header=BB75_43 Depth=1
	v_add_u32_e32 v13, -16, v16
	ds_read_b64 v[13:14], v13
	s_waitcnt lgkmcnt(0)
	v_add_f64 v[5:6], v[5:6], v[13:14]
.LBB75_59:                              ;   in Loop: Header=BB75_43 Depth=1
	s_or_b64 exec, exec, s[36:37]
.LBB75_60:                              ;   in Loop: Header=BB75_43 Depth=1
	s_or_b64 exec, exec, s[4:5]
	s_barrier
	ds_write_b64 v16, v[5:6]
	s_waitcnt lgkmcnt(0)
	s_barrier
	s_and_saveexec_b64 s[4:5], s[8:9]
	s_cbranch_execz .LBB75_64
; %bb.61:                               ;   in Loop: Header=BB75_43 Depth=1
	ds_read_b64 v[13:14], v19
	s_waitcnt lgkmcnt(0)
	v_cmp_eq_u64_e32 vcc, v[3:4], v[13:14]
	s_and_saveexec_b64 s[36:37], vcc
	s_cbranch_execz .LBB75_63
; %bb.62:                               ;   in Loop: Header=BB75_43 Depth=1
	v_subrev_u32_e32 v13, 32, v16
	ds_read_b64 v[13:14], v13
	s_waitcnt lgkmcnt(0)
	v_add_f64 v[5:6], v[5:6], v[13:14]
.LBB75_63:                              ;   in Loop: Header=BB75_43 Depth=1
	s_or_b64 exec, exec, s[36:37]
.LBB75_64:                              ;   in Loop: Header=BB75_43 Depth=1
	s_or_b64 exec, exec, s[4:5]
	s_barrier
	ds_write_b64 v16, v[5:6]
	s_waitcnt lgkmcnt(0)
	s_barrier
	s_and_saveexec_b64 s[4:5], s[10:11]
	s_cbranch_execz .LBB75_68
; %bb.65:                               ;   in Loop: Header=BB75_43 Depth=1
	ds_read_b64 v[13:14], v20
	s_waitcnt lgkmcnt(0)
	v_cmp_eq_u64_e32 vcc, v[3:4], v[13:14]
	s_and_saveexec_b64 s[36:37], vcc
	s_cbranch_execz .LBB75_67
; %bb.66:                               ;   in Loop: Header=BB75_43 Depth=1
	v_subrev_u32_e32 v13, 64, v16
	ds_read_b64 v[13:14], v13
	s_waitcnt lgkmcnt(0)
	v_add_f64 v[5:6], v[5:6], v[13:14]
.LBB75_67:                              ;   in Loop: Header=BB75_43 Depth=1
	s_or_b64 exec, exec, s[36:37]
.LBB75_68:                              ;   in Loop: Header=BB75_43 Depth=1
	s_or_b64 exec, exec, s[4:5]
	s_barrier
	ds_write_b64 v16, v[5:6]
	s_waitcnt lgkmcnt(0)
	s_barrier
	s_and_saveexec_b64 s[4:5], s[12:13]
	s_cbranch_execz .LBB75_72
; %bb.69:                               ;   in Loop: Header=BB75_43 Depth=1
	ds_read_b64 v[13:14], v21
	s_waitcnt lgkmcnt(0)
	v_cmp_eq_u64_e32 vcc, v[3:4], v[13:14]
	s_and_saveexec_b64 s[36:37], vcc
	s_cbranch_execz .LBB75_71
; %bb.70:                               ;   in Loop: Header=BB75_43 Depth=1
	ds_read_b64 v[13:14], v22
	s_waitcnt lgkmcnt(0)
	v_add_f64 v[5:6], v[5:6], v[13:14]
.LBB75_71:                              ;   in Loop: Header=BB75_43 Depth=1
	s_or_b64 exec, exec, s[36:37]
.LBB75_72:                              ;   in Loop: Header=BB75_43 Depth=1
	s_or_b64 exec, exec, s[4:5]
	s_barrier
	ds_write_b64 v16, v[5:6]
	s_waitcnt lgkmcnt(0)
	s_barrier
	s_and_saveexec_b64 s[4:5], s[14:15]
	s_cbranch_execz .LBB75_76
; %bb.73:                               ;   in Loop: Header=BB75_43 Depth=1
	ds_read_b64 v[13:14], v23
	s_waitcnt lgkmcnt(0)
	v_cmp_eq_u64_e32 vcc, v[3:4], v[13:14]
	s_and_saveexec_b64 s[36:37], vcc
	s_cbranch_execz .LBB75_75
; %bb.74:                               ;   in Loop: Header=BB75_43 Depth=1
	ds_read_b64 v[13:14], v24
	s_waitcnt lgkmcnt(0)
	v_add_f64 v[5:6], v[5:6], v[13:14]
.LBB75_75:                              ;   in Loop: Header=BB75_43 Depth=1
	s_or_b64 exec, exec, s[36:37]
.LBB75_76:                              ;   in Loop: Header=BB75_43 Depth=1
	;; [unrolled: 20-line block ×4, first 2 shown]
	s_or_b64 exec, exec, s[4:5]
	s_barrier
	ds_write_b64 v16, v[5:6]
	s_waitcnt lgkmcnt(0)
	s_barrier
	s_and_saveexec_b64 s[36:37], s[20:21]
	s_cbranch_execz .LBB75_42
; %bb.85:                               ;   in Loop: Header=BB75_43 Depth=1
	ds_read_b64 v[13:14], v15 offset:8
	v_cmp_lt_i64_e64 s[4:5], -1, v[3:4]
	s_waitcnt lgkmcnt(0)
	v_cmp_ne_u64_e32 vcc, v[3:4], v[13:14]
	s_and_b64 s[4:5], s[4:5], vcc
	s_and_b64 exec, exec, s[4:5]
	s_cbranch_execz .LBB75_42
; %bb.86:                               ;   in Loop: Header=BB75_43 Depth=1
	v_lshlrev_b64 v[13:14], 3, v[3:4]
	v_mov_b32_e32 v30, s41
	v_add_co_u32_e32 v13, vcc, s40, v13
	v_addc_co_u32_e32 v14, vcc, v30, v14, vcc
	global_load_dwordx2 v[30:31], v[13:14], off
	s_waitcnt vmcnt(0)
	v_fma_f64 v[30:31], v[1:2], v[5:6], v[30:31]
	global_store_dwordx2 v[13:14], v[30:31], off
	s_branch .LBB75_42
.LBB75_87:
	s_movk_i32 s0, 0xff
	v_cmp_eq_u32_e32 vcc, s0, v0
	s_and_b64 exec, exec, vcc
	s_cbranch_execz .LBB75_89
; %bb.88:
	v_mul_f64 v[0:1], v[1:2], v[5:6]
	s_lshl_b64 s[0:1], s[6:7], 3
	s_waitcnt lgkmcnt(0)
	s_add_u32 s2, s24, s0
	s_addc_u32 s3, s25, s1
	v_mov_b32_e32 v2, 0
	s_add_u32 s0, s26, s0
	s_addc_u32 s1, s27, s1
	global_store_dwordx2 v2, v[3:4], s[2:3] glc slc
	global_store_dwordx2 v2, v[0:1], s[0:1] glc slc
.LBB75_89:
	s_endpgm
	.section	.rodata,"a",@progbits
	.p2align	6, 0x0
	.amdhsa_kernel _ZN9rocsparseL26coomvn_aos_segmented_loopsILj256ElfdddEEvlT0_NS_24const_host_device_scalarIT4_EEPKS1_PKT1_PKT2_PT3_PS1_PS3_21rocsparse_index_base_b
		.amdhsa_group_segment_fixed_size 4096
		.amdhsa_private_segment_fixed_size 0
		.amdhsa_kernarg_size 80
		.amdhsa_user_sgpr_count 6
		.amdhsa_user_sgpr_private_segment_buffer 1
		.amdhsa_user_sgpr_dispatch_ptr 0
		.amdhsa_user_sgpr_queue_ptr 0
		.amdhsa_user_sgpr_kernarg_segment_ptr 1
		.amdhsa_user_sgpr_dispatch_id 0
		.amdhsa_user_sgpr_flat_scratch_init 0
		.amdhsa_user_sgpr_private_segment_size 0
		.amdhsa_uses_dynamic_stack 0
		.amdhsa_system_sgpr_private_segment_wavefront_offset 0
		.amdhsa_system_sgpr_workgroup_id_x 1
		.amdhsa_system_sgpr_workgroup_id_y 0
		.amdhsa_system_sgpr_workgroup_id_z 0
		.amdhsa_system_sgpr_workgroup_info 0
		.amdhsa_system_vgpr_workitem_id 0
		.amdhsa_next_free_vgpr 34
		.amdhsa_next_free_sgpr 46
		.amdhsa_reserve_vcc 1
		.amdhsa_reserve_flat_scratch 0
		.amdhsa_float_round_mode_32 0
		.amdhsa_float_round_mode_16_64 0
		.amdhsa_float_denorm_mode_32 3
		.amdhsa_float_denorm_mode_16_64 3
		.amdhsa_dx10_clamp 1
		.amdhsa_ieee_mode 1
		.amdhsa_fp16_overflow 0
		.amdhsa_exception_fp_ieee_invalid_op 0
		.amdhsa_exception_fp_denorm_src 0
		.amdhsa_exception_fp_ieee_div_zero 0
		.amdhsa_exception_fp_ieee_overflow 0
		.amdhsa_exception_fp_ieee_underflow 0
		.amdhsa_exception_fp_ieee_inexact 0
		.amdhsa_exception_int_div_zero 0
	.end_amdhsa_kernel
	.section	.text._ZN9rocsparseL26coomvn_aos_segmented_loopsILj256ElfdddEEvlT0_NS_24const_host_device_scalarIT4_EEPKS1_PKT1_PKT2_PT3_PS1_PS3_21rocsparse_index_base_b,"axG",@progbits,_ZN9rocsparseL26coomvn_aos_segmented_loopsILj256ElfdddEEvlT0_NS_24const_host_device_scalarIT4_EEPKS1_PKT1_PKT2_PT3_PS1_PS3_21rocsparse_index_base_b,comdat
.Lfunc_end75:
	.size	_ZN9rocsparseL26coomvn_aos_segmented_loopsILj256ElfdddEEvlT0_NS_24const_host_device_scalarIT4_EEPKS1_PKT1_PKT2_PT3_PS1_PS3_21rocsparse_index_base_b, .Lfunc_end75-_ZN9rocsparseL26coomvn_aos_segmented_loopsILj256ElfdddEEvlT0_NS_24const_host_device_scalarIT4_EEPKS1_PKT1_PKT2_PT3_PS1_PS3_21rocsparse_index_base_b
                                        ; -- End function
	.set _ZN9rocsparseL26coomvn_aos_segmented_loopsILj256ElfdddEEvlT0_NS_24const_host_device_scalarIT4_EEPKS1_PKT1_PKT2_PT3_PS1_PS3_21rocsparse_index_base_b.num_vgpr, 34
	.set _ZN9rocsparseL26coomvn_aos_segmented_loopsILj256ElfdddEEvlT0_NS_24const_host_device_scalarIT4_EEPKS1_PKT1_PKT2_PT3_PS1_PS3_21rocsparse_index_base_b.num_agpr, 0
	.set _ZN9rocsparseL26coomvn_aos_segmented_loopsILj256ElfdddEEvlT0_NS_24const_host_device_scalarIT4_EEPKS1_PKT1_PKT2_PT3_PS1_PS3_21rocsparse_index_base_b.numbered_sgpr, 46
	.set _ZN9rocsparseL26coomvn_aos_segmented_loopsILj256ElfdddEEvlT0_NS_24const_host_device_scalarIT4_EEPKS1_PKT1_PKT2_PT3_PS1_PS3_21rocsparse_index_base_b.num_named_barrier, 0
	.set _ZN9rocsparseL26coomvn_aos_segmented_loopsILj256ElfdddEEvlT0_NS_24const_host_device_scalarIT4_EEPKS1_PKT1_PKT2_PT3_PS1_PS3_21rocsparse_index_base_b.private_seg_size, 0
	.set _ZN9rocsparseL26coomvn_aos_segmented_loopsILj256ElfdddEEvlT0_NS_24const_host_device_scalarIT4_EEPKS1_PKT1_PKT2_PT3_PS1_PS3_21rocsparse_index_base_b.uses_vcc, 1
	.set _ZN9rocsparseL26coomvn_aos_segmented_loopsILj256ElfdddEEvlT0_NS_24const_host_device_scalarIT4_EEPKS1_PKT1_PKT2_PT3_PS1_PS3_21rocsparse_index_base_b.uses_flat_scratch, 0
	.set _ZN9rocsparseL26coomvn_aos_segmented_loopsILj256ElfdddEEvlT0_NS_24const_host_device_scalarIT4_EEPKS1_PKT1_PKT2_PT3_PS1_PS3_21rocsparse_index_base_b.has_dyn_sized_stack, 0
	.set _ZN9rocsparseL26coomvn_aos_segmented_loopsILj256ElfdddEEvlT0_NS_24const_host_device_scalarIT4_EEPKS1_PKT1_PKT2_PT3_PS1_PS3_21rocsparse_index_base_b.has_recursion, 0
	.set _ZN9rocsparseL26coomvn_aos_segmented_loopsILj256ElfdddEEvlT0_NS_24const_host_device_scalarIT4_EEPKS1_PKT1_PKT2_PT3_PS1_PS3_21rocsparse_index_base_b.has_indirect_call, 0
	.section	.AMDGPU.csdata,"",@progbits
; Kernel info:
; codeLenInByte = 2676
; TotalNumSgprs: 50
; NumVgprs: 34
; ScratchSize: 0
; MemoryBound: 1
; FloatMode: 240
; IeeeMode: 1
; LDSByteSize: 4096 bytes/workgroup (compile time only)
; SGPRBlocks: 6
; VGPRBlocks: 8
; NumSGPRsForWavesPerEU: 50
; NumVGPRsForWavesPerEU: 34
; Occupancy: 7
; WaveLimiterHint : 1
; COMPUTE_PGM_RSRC2:SCRATCH_EN: 0
; COMPUTE_PGM_RSRC2:USER_SGPR: 6
; COMPUTE_PGM_RSRC2:TRAP_HANDLER: 0
; COMPUTE_PGM_RSRC2:TGID_X_EN: 1
; COMPUTE_PGM_RSRC2:TGID_Y_EN: 0
; COMPUTE_PGM_RSRC2:TGID_Z_EN: 0
; COMPUTE_PGM_RSRC2:TIDIG_COMP_CNT: 0
	.section	.text._ZN9rocsparseL23coomvn_aos_atomic_loopsILj256ELj1Ei21rocsparse_complex_numIfES1_IdES3_S3_EEvlNS_24const_host_device_scalarIT5_EEPKT1_PKT2_PKT3_PT4_21rocsparse_index_base_b,"axG",@progbits,_ZN9rocsparseL23coomvn_aos_atomic_loopsILj256ELj1Ei21rocsparse_complex_numIfES1_IdES3_S3_EEvlNS_24const_host_device_scalarIT5_EEPKT1_PKT2_PKT3_PT4_21rocsparse_index_base_b,comdat
	.globl	_ZN9rocsparseL23coomvn_aos_atomic_loopsILj256ELj1Ei21rocsparse_complex_numIfES1_IdES3_S3_EEvlNS_24const_host_device_scalarIT5_EEPKT1_PKT2_PKT3_PT4_21rocsparse_index_base_b ; -- Begin function _ZN9rocsparseL23coomvn_aos_atomic_loopsILj256ELj1Ei21rocsparse_complex_numIfES1_IdES3_S3_EEvlNS_24const_host_device_scalarIT5_EEPKT1_PKT2_PKT3_PT4_21rocsparse_index_base_b
	.p2align	8
	.type	_ZN9rocsparseL23coomvn_aos_atomic_loopsILj256ELj1Ei21rocsparse_complex_numIfES1_IdES3_S3_EEvlNS_24const_host_device_scalarIT5_EEPKT1_PKT2_PKT3_PT4_21rocsparse_index_base_b,@function
_ZN9rocsparseL23coomvn_aos_atomic_loopsILj256ELj1Ei21rocsparse_complex_numIfES1_IdES3_S3_EEvlNS_24const_host_device_scalarIT5_EEPKT1_PKT2_PKT3_PT4_21rocsparse_index_base_b: ; @_ZN9rocsparseL23coomvn_aos_atomic_loopsILj256ELj1Ei21rocsparse_complex_numIfES1_IdES3_S3_EEvlNS_24const_host_device_scalarIT5_EEPKT1_PKT2_PKT3_PT4_21rocsparse_index_base_b
; %bb.0:
	s_load_dwordx2 s[2:3], s[4:5], 0x38
	s_load_dwordx4 s[8:11], s[4:5], 0x0
	s_or_b32 s0, s4, 8
	s_waitcnt lgkmcnt(0)
	s_bitcmp1_b32 s3, 0
	s_cselect_b32 s1, s5, s11
	s_cselect_b32 s0, s0, s10
	v_mov_b32_e32 v1, s0
	v_mov_b32_e32 v2, s1
	flat_load_dwordx4 v[1:4], v[1:2]
	s_waitcnt vmcnt(0) lgkmcnt(0)
	v_cmp_neq_f64_e32 vcc, 0, v[1:2]
	v_cmp_neq_f64_e64 s[0:1], 0, v[3:4]
	s_or_b64 s[0:1], vcc, s[0:1]
	s_and_saveexec_b64 s[10:11], s[0:1]
	s_cbranch_execz .LBB76_46
; %bb.1:
	v_mov_b32_e32 v5, 0
	v_lshl_or_b32 v9, s6, 8, v0
	v_mov_b32_e32 v10, 0
	v_mov_b32_e32 v6, 0
	v_cmp_gt_i64_e32 vcc, s[8:9], v[9:10]
	v_mov_b32_e32 v8, v6
	v_mov_b32_e32 v13, -1
	v_mov_b32_e32 v7, v5
	s_and_saveexec_b64 s[0:1], vcc
	s_cbranch_execz .LBB76_3
; %bb.2:
	s_load_dwordx4 s[8:11], s[4:5], 0x18
	s_load_dwordx2 s[6:7], s[4:5], 0x28
	v_lshlrev_b64 v[5:6], 3, v[9:10]
	s_waitcnt lgkmcnt(0)
	v_mov_b32_e32 v8, s9
	v_add_co_u32_e32 v7, vcc, s8, v5
	v_addc_co_u32_e32 v8, vcc, v8, v6, vcc
	global_load_dwordx2 v[11:12], v[7:8], off glc slc
	v_mov_b32_e32 v7, s11
	v_add_co_u32_e32 v5, vcc, s10, v5
	v_addc_co_u32_e32 v6, vcc, v7, v6, vcc
	global_load_dwordx2 v[5:6], v[5:6], off glc slc
	v_mov_b32_e32 v9, s7
	s_waitcnt vmcnt(1)
	v_subrev_u32_e32 v7, s2, v12
	v_ashrrev_i32_e32 v8, 31, v7
	v_lshlrev_b64 v[7:8], 4, v[7:8]
	v_add_co_u32_e32 v7, vcc, s6, v7
	v_addc_co_u32_e32 v8, vcc, v9, v8, vcc
	global_load_dwordx4 v[7:10], v[7:8], off
	s_waitcnt vmcnt(1)
	v_cvt_f64_f32_e32 v[12:13], v6
	v_cvt_f64_f32_e32 v[5:6], v5
	s_waitcnt vmcnt(0)
	v_mul_f64 v[14:15], v[9:10], -v[12:13]
	v_mul_f64 v[9:10], v[9:10], v[5:6]
	v_fma_f64 v[5:6], v[5:6], v[7:8], v[14:15]
	v_fma_f64 v[7:8], v[12:13], v[7:8], v[9:10]
	v_subrev_u32_e32 v13, s2, v11
.LBB76_3:
	s_or_b64 exec, exec, s[0:1]
	v_lshlrev_b32_e32 v10, 2, v0
	v_or_b32_e32 v9, 0x1000, v10
	ds_write_b32 v10, v13 offset:4096
	v_lshlrev_b32_e32 v10, 4, v0
	v_cmp_ne_u32_e32 vcc, 0, v0
	ds_write_b128 v10, v[5:8]
	s_waitcnt lgkmcnt(0)
	s_barrier
	s_and_saveexec_b64 s[0:1], vcc
	s_cbranch_execz .LBB76_7
; %bb.4:
	v_add_u32_e32 v11, -4, v9
	ds_read_b32 v11, v11
	s_waitcnt lgkmcnt(0)
	v_cmp_eq_u32_e32 vcc, v13, v11
	s_and_saveexec_b64 s[2:3], vcc
	s_cbranch_execz .LBB76_6
; %bb.5:
	v_add_u32_e32 v11, -16, v10
	ds_read_b128 v[14:17], v11
	s_waitcnt lgkmcnt(0)
	v_add_f64 v[5:6], v[5:6], v[14:15]
	v_add_f64 v[7:8], v[7:8], v[16:17]
.LBB76_6:
	s_or_b64 exec, exec, s[2:3]
.LBB76_7:
	s_or_b64 exec, exec, s[0:1]
	v_cmp_lt_u32_e32 vcc, 1, v0
	s_barrier
	ds_write_b128 v10, v[5:8]
	s_waitcnt lgkmcnt(0)
	s_barrier
	s_and_saveexec_b64 s[0:1], vcc
	s_cbranch_execz .LBB76_11
; %bb.8:
	v_add_u32_e32 v11, -8, v9
	ds_read_b32 v11, v11
	s_waitcnt lgkmcnt(0)
	v_cmp_eq_u32_e32 vcc, v13, v11
	s_and_saveexec_b64 s[2:3], vcc
	s_cbranch_execz .LBB76_10
; %bb.9:
	v_subrev_u32_e32 v11, 32, v10
	ds_read_b128 v[14:17], v11
	s_waitcnt lgkmcnt(0)
	v_add_f64 v[5:6], v[5:6], v[14:15]
	v_add_f64 v[7:8], v[7:8], v[16:17]
.LBB76_10:
	s_or_b64 exec, exec, s[2:3]
.LBB76_11:
	s_or_b64 exec, exec, s[0:1]
	v_cmp_lt_u32_e32 vcc, 3, v0
	s_barrier
	ds_write_b128 v10, v[5:8]
	s_waitcnt lgkmcnt(0)
	s_barrier
	s_and_saveexec_b64 s[0:1], vcc
	s_cbranch_execz .LBB76_15
; %bb.12:
	v_add_u32_e32 v11, -16, v9
	ds_read_b32 v11, v11
	s_waitcnt lgkmcnt(0)
	v_cmp_eq_u32_e32 vcc, v13, v11
	s_and_saveexec_b64 s[2:3], vcc
	s_cbranch_execz .LBB76_14
; %bb.13:
	v_subrev_u32_e32 v11, 64, v10
	ds_read_b128 v[14:17], v11
	s_waitcnt lgkmcnt(0)
	v_add_f64 v[5:6], v[5:6], v[14:15]
	v_add_f64 v[7:8], v[7:8], v[16:17]
.LBB76_14:
	s_or_b64 exec, exec, s[2:3]
.LBB76_15:
	s_or_b64 exec, exec, s[0:1]
	v_cmp_lt_u32_e32 vcc, 7, v0
	s_barrier
	ds_write_b128 v10, v[5:8]
	s_waitcnt lgkmcnt(0)
	s_barrier
	s_and_saveexec_b64 s[0:1], vcc
	s_cbranch_execz .LBB76_19
; %bb.16:
	v_subrev_u32_e32 v11, 32, v9
	ds_read_b32 v11, v11
	s_waitcnt lgkmcnt(0)
	v_cmp_eq_u32_e32 vcc, v13, v11
	s_and_saveexec_b64 s[2:3], vcc
	s_cbranch_execz .LBB76_18
; %bb.17:
	v_add_u32_e32 v11, 0xffffff80, v10
	ds_read_b128 v[14:17], v11
	s_waitcnt lgkmcnt(0)
	v_add_f64 v[5:6], v[5:6], v[14:15]
	v_add_f64 v[7:8], v[7:8], v[16:17]
.LBB76_18:
	s_or_b64 exec, exec, s[2:3]
.LBB76_19:
	s_or_b64 exec, exec, s[0:1]
	v_cmp_lt_u32_e32 vcc, 15, v0
	s_barrier
	ds_write_b128 v10, v[5:8]
	s_waitcnt lgkmcnt(0)
	s_barrier
	s_and_saveexec_b64 s[0:1], vcc
	s_cbranch_execz .LBB76_23
; %bb.20:
	v_subrev_u32_e32 v11, 64, v9
	ds_read_b32 v11, v11
	s_waitcnt lgkmcnt(0)
	v_cmp_eq_u32_e32 vcc, v13, v11
	s_and_saveexec_b64 s[2:3], vcc
	s_cbranch_execz .LBB76_22
; %bb.21:
	v_add_u32_e32 v11, 0xffffff00, v10
	ds_read_b128 v[14:17], v11
	s_waitcnt lgkmcnt(0)
	v_add_f64 v[5:6], v[5:6], v[14:15]
	v_add_f64 v[7:8], v[7:8], v[16:17]
.LBB76_22:
	s_or_b64 exec, exec, s[2:3]
.LBB76_23:
	s_or_b64 exec, exec, s[0:1]
	v_cmp_lt_u32_e32 vcc, 31, v0
	s_barrier
	ds_write_b128 v10, v[5:8]
	s_waitcnt lgkmcnt(0)
	s_barrier
	s_and_saveexec_b64 s[0:1], vcc
	s_cbranch_execz .LBB76_27
; %bb.24:
	v_add_u32_e32 v11, 0xffffff80, v9
	ds_read_b32 v11, v11
	s_waitcnt lgkmcnt(0)
	v_cmp_eq_u32_e32 vcc, v13, v11
	s_and_saveexec_b64 s[2:3], vcc
	s_cbranch_execz .LBB76_26
; %bb.25:
	v_add_u32_e32 v11, 0xfffffe00, v10
	ds_read_b128 v[14:17], v11
	s_waitcnt lgkmcnt(0)
	v_add_f64 v[5:6], v[5:6], v[14:15]
	v_add_f64 v[7:8], v[7:8], v[16:17]
.LBB76_26:
	s_or_b64 exec, exec, s[2:3]
.LBB76_27:
	s_or_b64 exec, exec, s[0:1]
	v_cmp_lt_u32_e32 vcc, 63, v0
	s_barrier
	ds_write_b128 v10, v[5:8]
	s_waitcnt lgkmcnt(0)
	s_barrier
	s_and_saveexec_b64 s[0:1], vcc
	s_cbranch_execz .LBB76_31
; %bb.28:
	v_add_u32_e32 v11, 0xffffff00, v9
	ds_read_b32 v11, v11
	s_waitcnt lgkmcnt(0)
	v_cmp_eq_u32_e32 vcc, v13, v11
	s_and_saveexec_b64 s[2:3], vcc
	s_cbranch_execz .LBB76_30
; %bb.29:
	v_add_u32_e32 v11, 0xfffffc00, v10
	ds_read_b128 v[14:17], v11
	s_waitcnt lgkmcnt(0)
	v_add_f64 v[5:6], v[5:6], v[14:15]
	v_add_f64 v[7:8], v[7:8], v[16:17]
.LBB76_30:
	s_or_b64 exec, exec, s[2:3]
.LBB76_31:
	s_or_b64 exec, exec, s[0:1]
	s_load_dwordx2 s[2:3], s[4:5], 0x30
	s_movk_i32 s0, 0x7f
	v_cmp_lt_u32_e32 vcc, s0, v0
	s_waitcnt lgkmcnt(0)
	s_barrier
	ds_write_b128 v10, v[5:8]
	s_waitcnt lgkmcnt(0)
	s_barrier
	s_and_saveexec_b64 s[0:1], vcc
	s_cbranch_execz .LBB76_35
; %bb.32:
	v_add_u32_e32 v11, 0xfffffe00, v9
	ds_read_b32 v11, v11
	s_waitcnt lgkmcnt(0)
	v_cmp_eq_u32_e32 vcc, v13, v11
	s_and_saveexec_b64 s[4:5], vcc
	s_cbranch_execz .LBB76_34
; %bb.33:
	v_add_u32_e32 v11, 0xfffff800, v10
	ds_read_b128 v[14:17], v11
	s_waitcnt lgkmcnt(0)
	v_add_f64 v[5:6], v[5:6], v[14:15]
	v_add_f64 v[7:8], v[7:8], v[16:17]
.LBB76_34:
	s_or_b64 exec, exec, s[4:5]
.LBB76_35:
	s_or_b64 exec, exec, s[0:1]
	s_movk_i32 s6, 0xff
	v_cmp_gt_u32_e32 vcc, s6, v0
	s_barrier
	ds_write_b128 v10, v[5:8]
	s_waitcnt lgkmcnt(0)
	s_barrier
	s_and_saveexec_b64 s[4:5], vcc
	s_cbranch_execz .LBB76_41
; %bb.36:
	ds_read_b32 v9, v9 offset:4
	v_cmp_lt_i32_e64 s[0:1], -1, v13
	s_waitcnt lgkmcnt(0)
	v_cmp_ne_u32_e32 vcc, v13, v9
	s_and_b64 s[0:1], s[0:1], vcc
	s_and_b64 exec, exec, s[0:1]
	s_cbranch_execz .LBB76_41
; %bb.37:
	v_mov_b32_e32 v14, 0
	v_lshlrev_b64 v[9:10], 4, v[13:14]
	v_mov_b32_e32 v11, s3
	v_add_co_u32_e32 v14, vcc, s2, v9
	v_addc_co_u32_e32 v15, vcc, v11, v10, vcc
	global_load_dwordx2 v[11:12], v[14:15], off
	v_mul_f64 v[9:10], v[7:8], -v[3:4]
	s_mov_b64 s[0:1], 0
	v_fma_f64 v[16:17], v[1:2], v[5:6], v[9:10]
.LBB76_38:                              ; =>This Inner Loop Header: Depth=1
	s_waitcnt vmcnt(0)
	v_add_f64 v[9:10], v[11:12], v[16:17]
	global_atomic_cmpswap_x2 v[9:10], v[14:15], v[9:12], off glc
	s_waitcnt vmcnt(0)
	v_cmp_eq_u64_e32 vcc, v[9:10], v[11:12]
	v_mov_b32_e32 v12, v10
	s_or_b64 s[0:1], vcc, s[0:1]
	v_mov_b32_e32 v11, v9
	s_andn2_b64 exec, exec, s[0:1]
	s_cbranch_execnz .LBB76_38
; %bb.39:
	s_or_b64 exec, exec, s[0:1]
	global_load_dwordx2 v[11:12], v[14:15], off offset:8
	v_mul_f64 v[9:10], v[1:2], v[7:8]
	s_mov_b64 s[0:1], 0
	v_fma_f64 v[16:17], v[3:4], v[5:6], v[9:10]
.LBB76_40:                              ; =>This Inner Loop Header: Depth=1
	s_waitcnt vmcnt(0)
	v_add_f64 v[9:10], v[11:12], v[16:17]
	global_atomic_cmpswap_x2 v[9:10], v[14:15], v[9:12], off offset:8 glc
	s_waitcnt vmcnt(0)
	v_cmp_eq_u64_e32 vcc, v[9:10], v[11:12]
	v_mov_b32_e32 v12, v10
	s_or_b64 s[0:1], vcc, s[0:1]
	v_mov_b32_e32 v11, v9
	s_andn2_b64 exec, exec, s[0:1]
	s_cbranch_execnz .LBB76_40
.LBB76_41:
	s_or_b64 exec, exec, s[4:5]
	v_cmp_eq_u32_e32 vcc, s6, v0
	v_cmp_lt_i32_e64 s[0:1], -1, v13
	s_and_b64 s[0:1], vcc, s[0:1]
	s_and_b64 exec, exec, s[0:1]
	s_cbranch_execz .LBB76_46
; %bb.42:
	v_mov_b32_e32 v14, 0
	v_lshlrev_b64 v[9:10], 4, v[13:14]
	v_mov_b32_e32 v0, s3
	v_add_co_u32_e32 v13, vcc, s2, v9
	v_addc_co_u32_e32 v14, vcc, v0, v10, vcc
	global_load_dwordx2 v[11:12], v[13:14], off
	v_mul_f64 v[9:10], v[7:8], -v[3:4]
	s_mov_b64 s[0:1], 0
	v_fma_f64 v[15:16], v[1:2], v[5:6], v[9:10]
.LBB76_43:                              ; =>This Inner Loop Header: Depth=1
	s_waitcnt vmcnt(0)
	v_add_f64 v[9:10], v[11:12], v[15:16]
	global_atomic_cmpswap_x2 v[9:10], v[13:14], v[9:12], off glc
	s_waitcnt vmcnt(0)
	v_cmp_eq_u64_e32 vcc, v[9:10], v[11:12]
	v_mov_b32_e32 v12, v10
	s_or_b64 s[0:1], vcc, s[0:1]
	v_mov_b32_e32 v11, v9
	s_andn2_b64 exec, exec, s[0:1]
	s_cbranch_execnz .LBB76_43
; %bb.44:
	s_or_b64 exec, exec, s[0:1]
	global_load_dwordx2 v[9:10], v[13:14], off offset:8
	v_mul_f64 v[0:1], v[1:2], v[7:8]
	s_mov_b64 s[0:1], 0
	v_fma_f64 v[0:1], v[3:4], v[5:6], v[0:1]
.LBB76_45:                              ; =>This Inner Loop Header: Depth=1
	s_waitcnt vmcnt(0)
	v_add_f64 v[7:8], v[9:10], v[0:1]
	global_atomic_cmpswap_x2 v[2:3], v[13:14], v[7:10], off offset:8 glc
	s_waitcnt vmcnt(0)
	v_cmp_eq_u64_e32 vcc, v[2:3], v[9:10]
	v_mov_b32_e32 v10, v3
	s_or_b64 s[0:1], vcc, s[0:1]
	v_mov_b32_e32 v9, v2
	s_andn2_b64 exec, exec, s[0:1]
	s_cbranch_execnz .LBB76_45
.LBB76_46:
	s_endpgm
	.section	.rodata,"a",@progbits
	.p2align	6, 0x0
	.amdhsa_kernel _ZN9rocsparseL23coomvn_aos_atomic_loopsILj256ELj1Ei21rocsparse_complex_numIfES1_IdES3_S3_EEvlNS_24const_host_device_scalarIT5_EEPKT1_PKT2_PKT3_PT4_21rocsparse_index_base_b
		.amdhsa_group_segment_fixed_size 5120
		.amdhsa_private_segment_fixed_size 0
		.amdhsa_kernarg_size 64
		.amdhsa_user_sgpr_count 6
		.amdhsa_user_sgpr_private_segment_buffer 1
		.amdhsa_user_sgpr_dispatch_ptr 0
		.amdhsa_user_sgpr_queue_ptr 0
		.amdhsa_user_sgpr_kernarg_segment_ptr 1
		.amdhsa_user_sgpr_dispatch_id 0
		.amdhsa_user_sgpr_flat_scratch_init 0
		.amdhsa_user_sgpr_private_segment_size 0
		.amdhsa_uses_dynamic_stack 0
		.amdhsa_system_sgpr_private_segment_wavefront_offset 0
		.amdhsa_system_sgpr_workgroup_id_x 1
		.amdhsa_system_sgpr_workgroup_id_y 0
		.amdhsa_system_sgpr_workgroup_id_z 0
		.amdhsa_system_sgpr_workgroup_info 0
		.amdhsa_system_vgpr_workitem_id 0
		.amdhsa_next_free_vgpr 18
		.amdhsa_next_free_sgpr 12
		.amdhsa_reserve_vcc 1
		.amdhsa_reserve_flat_scratch 0
		.amdhsa_float_round_mode_32 0
		.amdhsa_float_round_mode_16_64 0
		.amdhsa_float_denorm_mode_32 3
		.amdhsa_float_denorm_mode_16_64 3
		.amdhsa_dx10_clamp 1
		.amdhsa_ieee_mode 1
		.amdhsa_fp16_overflow 0
		.amdhsa_exception_fp_ieee_invalid_op 0
		.amdhsa_exception_fp_denorm_src 0
		.amdhsa_exception_fp_ieee_div_zero 0
		.amdhsa_exception_fp_ieee_overflow 0
		.amdhsa_exception_fp_ieee_underflow 0
		.amdhsa_exception_fp_ieee_inexact 0
		.amdhsa_exception_int_div_zero 0
	.end_amdhsa_kernel
	.section	.text._ZN9rocsparseL23coomvn_aos_atomic_loopsILj256ELj1Ei21rocsparse_complex_numIfES1_IdES3_S3_EEvlNS_24const_host_device_scalarIT5_EEPKT1_PKT2_PKT3_PT4_21rocsparse_index_base_b,"axG",@progbits,_ZN9rocsparseL23coomvn_aos_atomic_loopsILj256ELj1Ei21rocsparse_complex_numIfES1_IdES3_S3_EEvlNS_24const_host_device_scalarIT5_EEPKT1_PKT2_PKT3_PT4_21rocsparse_index_base_b,comdat
.Lfunc_end76:
	.size	_ZN9rocsparseL23coomvn_aos_atomic_loopsILj256ELj1Ei21rocsparse_complex_numIfES1_IdES3_S3_EEvlNS_24const_host_device_scalarIT5_EEPKT1_PKT2_PKT3_PT4_21rocsparse_index_base_b, .Lfunc_end76-_ZN9rocsparseL23coomvn_aos_atomic_loopsILj256ELj1Ei21rocsparse_complex_numIfES1_IdES3_S3_EEvlNS_24const_host_device_scalarIT5_EEPKT1_PKT2_PKT3_PT4_21rocsparse_index_base_b
                                        ; -- End function
	.set _ZN9rocsparseL23coomvn_aos_atomic_loopsILj256ELj1Ei21rocsparse_complex_numIfES1_IdES3_S3_EEvlNS_24const_host_device_scalarIT5_EEPKT1_PKT2_PKT3_PT4_21rocsparse_index_base_b.num_vgpr, 18
	.set _ZN9rocsparseL23coomvn_aos_atomic_loopsILj256ELj1Ei21rocsparse_complex_numIfES1_IdES3_S3_EEvlNS_24const_host_device_scalarIT5_EEPKT1_PKT2_PKT3_PT4_21rocsparse_index_base_b.num_agpr, 0
	.set _ZN9rocsparseL23coomvn_aos_atomic_loopsILj256ELj1Ei21rocsparse_complex_numIfES1_IdES3_S3_EEvlNS_24const_host_device_scalarIT5_EEPKT1_PKT2_PKT3_PT4_21rocsparse_index_base_b.numbered_sgpr, 12
	.set _ZN9rocsparseL23coomvn_aos_atomic_loopsILj256ELj1Ei21rocsparse_complex_numIfES1_IdES3_S3_EEvlNS_24const_host_device_scalarIT5_EEPKT1_PKT2_PKT3_PT4_21rocsparse_index_base_b.num_named_barrier, 0
	.set _ZN9rocsparseL23coomvn_aos_atomic_loopsILj256ELj1Ei21rocsparse_complex_numIfES1_IdES3_S3_EEvlNS_24const_host_device_scalarIT5_EEPKT1_PKT2_PKT3_PT4_21rocsparse_index_base_b.private_seg_size, 0
	.set _ZN9rocsparseL23coomvn_aos_atomic_loopsILj256ELj1Ei21rocsparse_complex_numIfES1_IdES3_S3_EEvlNS_24const_host_device_scalarIT5_EEPKT1_PKT2_PKT3_PT4_21rocsparse_index_base_b.uses_vcc, 1
	.set _ZN9rocsparseL23coomvn_aos_atomic_loopsILj256ELj1Ei21rocsparse_complex_numIfES1_IdES3_S3_EEvlNS_24const_host_device_scalarIT5_EEPKT1_PKT2_PKT3_PT4_21rocsparse_index_base_b.uses_flat_scratch, 0
	.set _ZN9rocsparseL23coomvn_aos_atomic_loopsILj256ELj1Ei21rocsparse_complex_numIfES1_IdES3_S3_EEvlNS_24const_host_device_scalarIT5_EEPKT1_PKT2_PKT3_PT4_21rocsparse_index_base_b.has_dyn_sized_stack, 0
	.set _ZN9rocsparseL23coomvn_aos_atomic_loopsILj256ELj1Ei21rocsparse_complex_numIfES1_IdES3_S3_EEvlNS_24const_host_device_scalarIT5_EEPKT1_PKT2_PKT3_PT4_21rocsparse_index_base_b.has_recursion, 0
	.set _ZN9rocsparseL23coomvn_aos_atomic_loopsILj256ELj1Ei21rocsparse_complex_numIfES1_IdES3_S3_EEvlNS_24const_host_device_scalarIT5_EEPKT1_PKT2_PKT3_PT4_21rocsparse_index_base_b.has_indirect_call, 0
	.section	.AMDGPU.csdata,"",@progbits
; Kernel info:
; codeLenInByte = 1620
; TotalNumSgprs: 16
; NumVgprs: 18
; ScratchSize: 0
; MemoryBound: 0
; FloatMode: 240
; IeeeMode: 1
; LDSByteSize: 5120 bytes/workgroup (compile time only)
; SGPRBlocks: 1
; VGPRBlocks: 4
; NumSGPRsForWavesPerEU: 16
; NumVGPRsForWavesPerEU: 18
; Occupancy: 10
; WaveLimiterHint : 1
; COMPUTE_PGM_RSRC2:SCRATCH_EN: 0
; COMPUTE_PGM_RSRC2:USER_SGPR: 6
; COMPUTE_PGM_RSRC2:TRAP_HANDLER: 0
; COMPUTE_PGM_RSRC2:TGID_X_EN: 1
; COMPUTE_PGM_RSRC2:TGID_Y_EN: 0
; COMPUTE_PGM_RSRC2:TGID_Z_EN: 0
; COMPUTE_PGM_RSRC2:TIDIG_COMP_CNT: 0
	.section	.text._ZN9rocsparseL17coomvt_aos_kernelILj1024Ei21rocsparse_complex_numIfES1_IdES3_S3_EEv20rocsparse_operation_lNS_24const_host_device_scalarIT4_EEPKT0_PKT1_PKT2_PT3_21rocsparse_index_base_b,"axG",@progbits,_ZN9rocsparseL17coomvt_aos_kernelILj1024Ei21rocsparse_complex_numIfES1_IdES3_S3_EEv20rocsparse_operation_lNS_24const_host_device_scalarIT4_EEPKT0_PKT1_PKT2_PT3_21rocsparse_index_base_b,comdat
	.globl	_ZN9rocsparseL17coomvt_aos_kernelILj1024Ei21rocsparse_complex_numIfES1_IdES3_S3_EEv20rocsparse_operation_lNS_24const_host_device_scalarIT4_EEPKT0_PKT1_PKT2_PT3_21rocsparse_index_base_b ; -- Begin function _ZN9rocsparseL17coomvt_aos_kernelILj1024Ei21rocsparse_complex_numIfES1_IdES3_S3_EEv20rocsparse_operation_lNS_24const_host_device_scalarIT4_EEPKT0_PKT1_PKT2_PT3_21rocsparse_index_base_b
	.p2align	8
	.type	_ZN9rocsparseL17coomvt_aos_kernelILj1024Ei21rocsparse_complex_numIfES1_IdES3_S3_EEv20rocsparse_operation_lNS_24const_host_device_scalarIT4_EEPKT0_PKT1_PKT2_PT3_21rocsparse_index_base_b,@function
_ZN9rocsparseL17coomvt_aos_kernelILj1024Ei21rocsparse_complex_numIfES1_IdES3_S3_EEv20rocsparse_operation_lNS_24const_host_device_scalarIT4_EEPKT0_PKT1_PKT2_PT3_21rocsparse_index_base_b: ; @_ZN9rocsparseL17coomvt_aos_kernelILj1024Ei21rocsparse_complex_numIfES1_IdES3_S3_EEv20rocsparse_operation_lNS_24const_host_device_scalarIT4_EEPKT0_PKT1_PKT2_PT3_21rocsparse_index_base_b
; %bb.0:
	s_load_dwordx2 s[2:3], s[4:5], 0x40
	s_load_dwordx4 s[8:11], s[4:5], 0x8
	s_add_u32 s0, s4, 16
	s_addc_u32 s1, s5, 0
	s_waitcnt lgkmcnt(0)
	s_bitcmp1_b32 s3, 0
	s_cselect_b32 s1, s1, s11
	s_cselect_b32 s0, s0, s10
	v_mov_b32_e32 v1, s0
	v_mov_b32_e32 v2, s1
	flat_load_dwordx4 v[1:4], v[1:2]
	s_waitcnt vmcnt(0) lgkmcnt(0)
	v_cmp_neq_f64_e32 vcc, 0, v[1:2]
	v_cmp_neq_f64_e64 s[0:1], 0, v[3:4]
	s_or_b64 s[0:1], vcc, s[0:1]
	s_and_saveexec_b64 s[10:11], s[0:1]
	s_cbranch_execz .LBB77_6
; %bb.1:
	s_load_dword s0, s[4:5], 0x54
	v_mov_b32_e32 v6, 0
	s_waitcnt lgkmcnt(0)
	s_and_b32 s0, s0, 0xffff
	s_mul_i32 s6, s6, s0
	v_add_u32_e32 v5, s6, v0
	v_cmp_gt_i64_e32 vcc, s[8:9], v[5:6]
	s_and_b64 exec, exec, vcc
	s_cbranch_execz .LBB77_6
; %bb.2:
	s_load_dwordx8 s[8:15], s[4:5], 0x20
	v_lshlrev_b64 v[5:6], 3, v[5:6]
	s_load_dword s0, s[4:5], 0x0
	s_waitcnt lgkmcnt(0)
	v_mov_b32_e32 v0, s9
	v_add_co_u32_e32 v7, vcc, s8, v5
	v_addc_co_u32_e32 v8, vcc, v0, v6, vcc
	global_load_dwordx2 v[8:9], v[7:8], off
	v_mov_b32_e32 v0, s11
	v_add_co_u32_e32 v5, vcc, s10, v5
	v_addc_co_u32_e32 v6, vcc, v0, v6, vcc
	global_load_dwordx2 v[15:16], v[5:6], off
	v_mov_b32_e32 v0, s13
	s_cmpk_eq_i32 s0, 0x71
	s_cselect_b64 s[0:1], -1, 0
	s_waitcnt vmcnt(1)
	v_subrev_u32_e32 v5, s2, v8
	v_ashrrev_i32_e32 v6, 31, v5
	v_lshlrev_b64 v[5:6], 4, v[5:6]
	v_subrev_u32_e32 v9, s2, v9
	v_add_co_u32_e32 v5, vcc, s12, v5
	v_addc_co_u32_e32 v6, vcc, v0, v6, vcc
	global_load_dwordx4 v[5:8], v[5:6], off
	v_ashrrev_i32_e32 v10, 31, v9
	v_lshlrev_b64 v[9:10], 4, v[9:10]
	v_mov_b32_e32 v0, s15
	v_add_co_u32_e32 v13, vcc, s14, v9
	v_addc_co_u32_e32 v14, vcc, v0, v10, vcc
	global_load_dwordx2 v[11:12], v[13:14], off
	s_waitcnt vmcnt(2)
	v_cndmask_b32_e64 v0, v16, -v16, s[0:1]
	v_cvt_f64_f32_e32 v[9:10], v0
	v_cvt_f64_f32_e32 v[18:19], v15
	s_mov_b64 s[0:1], 0
	v_mul_f64 v[16:17], v[1:2], v[9:10]
	v_mul_f64 v[9:10], -v[3:4], v[9:10]
	v_fma_f64 v[15:16], v[3:4], v[18:19], v[16:17]
	v_fma_f64 v[0:1], v[1:2], v[18:19], v[9:10]
	s_waitcnt vmcnt(1)
	v_mul_f64 v[2:3], v[7:8], -v[15:16]
	v_fma_f64 v[2:3], v[0:1], v[5:6], v[2:3]
.LBB77_3:                               ; =>This Inner Loop Header: Depth=1
	s_waitcnt vmcnt(0)
	v_add_f64 v[9:10], v[11:12], v[2:3]
	global_atomic_cmpswap_x2 v[9:10], v[13:14], v[9:12], off glc
	s_waitcnt vmcnt(0)
	v_cmp_eq_u64_e32 vcc, v[9:10], v[11:12]
	v_mov_b32_e32 v12, v10
	s_or_b64 s[0:1], vcc, s[0:1]
	v_mov_b32_e32 v11, v9
	s_andn2_b64 exec, exec, s[0:1]
	s_cbranch_execnz .LBB77_3
; %bb.4:
	s_or_b64 exec, exec, s[0:1]
	global_load_dwordx2 v[2:3], v[13:14], off offset:8
	v_mul_f64 v[0:1], v[7:8], v[0:1]
	s_mov_b64 s[0:1], 0
	v_fma_f64 v[4:5], v[15:16], v[5:6], v[0:1]
.LBB77_5:                               ; =>This Inner Loop Header: Depth=1
	s_waitcnt vmcnt(0)
	v_add_f64 v[0:1], v[2:3], v[4:5]
	global_atomic_cmpswap_x2 v[0:1], v[13:14], v[0:3], off offset:8 glc
	s_waitcnt vmcnt(0)
	v_cmp_eq_u64_e32 vcc, v[0:1], v[2:3]
	v_mov_b32_e32 v3, v1
	s_or_b64 s[0:1], vcc, s[0:1]
	v_mov_b32_e32 v2, v0
	s_andn2_b64 exec, exec, s[0:1]
	s_cbranch_execnz .LBB77_5
.LBB77_6:
	s_endpgm
	.section	.rodata,"a",@progbits
	.p2align	6, 0x0
	.amdhsa_kernel _ZN9rocsparseL17coomvt_aos_kernelILj1024Ei21rocsparse_complex_numIfES1_IdES3_S3_EEv20rocsparse_operation_lNS_24const_host_device_scalarIT4_EEPKT0_PKT1_PKT2_PT3_21rocsparse_index_base_b
		.amdhsa_group_segment_fixed_size 0
		.amdhsa_private_segment_fixed_size 0
		.amdhsa_kernarg_size 328
		.amdhsa_user_sgpr_count 6
		.amdhsa_user_sgpr_private_segment_buffer 1
		.amdhsa_user_sgpr_dispatch_ptr 0
		.amdhsa_user_sgpr_queue_ptr 0
		.amdhsa_user_sgpr_kernarg_segment_ptr 1
		.amdhsa_user_sgpr_dispatch_id 0
		.amdhsa_user_sgpr_flat_scratch_init 0
		.amdhsa_user_sgpr_private_segment_size 0
		.amdhsa_uses_dynamic_stack 0
		.amdhsa_system_sgpr_private_segment_wavefront_offset 0
		.amdhsa_system_sgpr_workgroup_id_x 1
		.amdhsa_system_sgpr_workgroup_id_y 0
		.amdhsa_system_sgpr_workgroup_id_z 0
		.amdhsa_system_sgpr_workgroup_info 0
		.amdhsa_system_vgpr_workitem_id 0
		.amdhsa_next_free_vgpr 20
		.amdhsa_next_free_sgpr 16
		.amdhsa_reserve_vcc 1
		.amdhsa_reserve_flat_scratch 0
		.amdhsa_float_round_mode_32 0
		.amdhsa_float_round_mode_16_64 0
		.amdhsa_float_denorm_mode_32 3
		.amdhsa_float_denorm_mode_16_64 3
		.amdhsa_dx10_clamp 1
		.amdhsa_ieee_mode 1
		.amdhsa_fp16_overflow 0
		.amdhsa_exception_fp_ieee_invalid_op 0
		.amdhsa_exception_fp_denorm_src 0
		.amdhsa_exception_fp_ieee_div_zero 0
		.amdhsa_exception_fp_ieee_overflow 0
		.amdhsa_exception_fp_ieee_underflow 0
		.amdhsa_exception_fp_ieee_inexact 0
		.amdhsa_exception_int_div_zero 0
	.end_amdhsa_kernel
	.section	.text._ZN9rocsparseL17coomvt_aos_kernelILj1024Ei21rocsparse_complex_numIfES1_IdES3_S3_EEv20rocsparse_operation_lNS_24const_host_device_scalarIT4_EEPKT0_PKT1_PKT2_PT3_21rocsparse_index_base_b,"axG",@progbits,_ZN9rocsparseL17coomvt_aos_kernelILj1024Ei21rocsparse_complex_numIfES1_IdES3_S3_EEv20rocsparse_operation_lNS_24const_host_device_scalarIT4_EEPKT0_PKT1_PKT2_PT3_21rocsparse_index_base_b,comdat
.Lfunc_end77:
	.size	_ZN9rocsparseL17coomvt_aos_kernelILj1024Ei21rocsparse_complex_numIfES1_IdES3_S3_EEv20rocsparse_operation_lNS_24const_host_device_scalarIT4_EEPKT0_PKT1_PKT2_PT3_21rocsparse_index_base_b, .Lfunc_end77-_ZN9rocsparseL17coomvt_aos_kernelILj1024Ei21rocsparse_complex_numIfES1_IdES3_S3_EEv20rocsparse_operation_lNS_24const_host_device_scalarIT4_EEPKT0_PKT1_PKT2_PT3_21rocsparse_index_base_b
                                        ; -- End function
	.set _ZN9rocsparseL17coomvt_aos_kernelILj1024Ei21rocsparse_complex_numIfES1_IdES3_S3_EEv20rocsparse_operation_lNS_24const_host_device_scalarIT4_EEPKT0_PKT1_PKT2_PT3_21rocsparse_index_base_b.num_vgpr, 20
	.set _ZN9rocsparseL17coomvt_aos_kernelILj1024Ei21rocsparse_complex_numIfES1_IdES3_S3_EEv20rocsparse_operation_lNS_24const_host_device_scalarIT4_EEPKT0_PKT1_PKT2_PT3_21rocsparse_index_base_b.num_agpr, 0
	.set _ZN9rocsparseL17coomvt_aos_kernelILj1024Ei21rocsparse_complex_numIfES1_IdES3_S3_EEv20rocsparse_operation_lNS_24const_host_device_scalarIT4_EEPKT0_PKT1_PKT2_PT3_21rocsparse_index_base_b.numbered_sgpr, 16
	.set _ZN9rocsparseL17coomvt_aos_kernelILj1024Ei21rocsparse_complex_numIfES1_IdES3_S3_EEv20rocsparse_operation_lNS_24const_host_device_scalarIT4_EEPKT0_PKT1_PKT2_PT3_21rocsparse_index_base_b.num_named_barrier, 0
	.set _ZN9rocsparseL17coomvt_aos_kernelILj1024Ei21rocsparse_complex_numIfES1_IdES3_S3_EEv20rocsparse_operation_lNS_24const_host_device_scalarIT4_EEPKT0_PKT1_PKT2_PT3_21rocsparse_index_base_b.private_seg_size, 0
	.set _ZN9rocsparseL17coomvt_aos_kernelILj1024Ei21rocsparse_complex_numIfES1_IdES3_S3_EEv20rocsparse_operation_lNS_24const_host_device_scalarIT4_EEPKT0_PKT1_PKT2_PT3_21rocsparse_index_base_b.uses_vcc, 1
	.set _ZN9rocsparseL17coomvt_aos_kernelILj1024Ei21rocsparse_complex_numIfES1_IdES3_S3_EEv20rocsparse_operation_lNS_24const_host_device_scalarIT4_EEPKT0_PKT1_PKT2_PT3_21rocsparse_index_base_b.uses_flat_scratch, 0
	.set _ZN9rocsparseL17coomvt_aos_kernelILj1024Ei21rocsparse_complex_numIfES1_IdES3_S3_EEv20rocsparse_operation_lNS_24const_host_device_scalarIT4_EEPKT0_PKT1_PKT2_PT3_21rocsparse_index_base_b.has_dyn_sized_stack, 0
	.set _ZN9rocsparseL17coomvt_aos_kernelILj1024Ei21rocsparse_complex_numIfES1_IdES3_S3_EEv20rocsparse_operation_lNS_24const_host_device_scalarIT4_EEPKT0_PKT1_PKT2_PT3_21rocsparse_index_base_b.has_recursion, 0
	.set _ZN9rocsparseL17coomvt_aos_kernelILj1024Ei21rocsparse_complex_numIfES1_IdES3_S3_EEv20rocsparse_operation_lNS_24const_host_device_scalarIT4_EEPKT0_PKT1_PKT2_PT3_21rocsparse_index_base_b.has_indirect_call, 0
	.section	.AMDGPU.csdata,"",@progbits
; Kernel info:
; codeLenInByte = 488
; TotalNumSgprs: 20
; NumVgprs: 20
; ScratchSize: 0
; MemoryBound: 0
; FloatMode: 240
; IeeeMode: 1
; LDSByteSize: 0 bytes/workgroup (compile time only)
; SGPRBlocks: 2
; VGPRBlocks: 4
; NumSGPRsForWavesPerEU: 20
; NumVGPRsForWavesPerEU: 20
; Occupancy: 10
; WaveLimiterHint : 1
; COMPUTE_PGM_RSRC2:SCRATCH_EN: 0
; COMPUTE_PGM_RSRC2:USER_SGPR: 6
; COMPUTE_PGM_RSRC2:TRAP_HANDLER: 0
; COMPUTE_PGM_RSRC2:TGID_X_EN: 1
; COMPUTE_PGM_RSRC2:TGID_Y_EN: 0
; COMPUTE_PGM_RSRC2:TGID_Z_EN: 0
; COMPUTE_PGM_RSRC2:TIDIG_COMP_CNT: 0
	.section	.text._ZN9rocsparseL26coomvn_aos_segmented_loopsILj256Ei21rocsparse_complex_numIfES1_IdES3_S3_EEvlT0_NS_24const_host_device_scalarIT4_EEPKS4_PKT1_PKT2_PT3_PS4_PS6_21rocsparse_index_base_b,"axG",@progbits,_ZN9rocsparseL26coomvn_aos_segmented_loopsILj256Ei21rocsparse_complex_numIfES1_IdES3_S3_EEvlT0_NS_24const_host_device_scalarIT4_EEPKS4_PKT1_PKT2_PT3_PS4_PS6_21rocsparse_index_base_b,comdat
	.globl	_ZN9rocsparseL26coomvn_aos_segmented_loopsILj256Ei21rocsparse_complex_numIfES1_IdES3_S3_EEvlT0_NS_24const_host_device_scalarIT4_EEPKS4_PKT1_PKT2_PT3_PS4_PS6_21rocsparse_index_base_b ; -- Begin function _ZN9rocsparseL26coomvn_aos_segmented_loopsILj256Ei21rocsparse_complex_numIfES1_IdES3_S3_EEvlT0_NS_24const_host_device_scalarIT4_EEPKS4_PKT1_PKT2_PT3_PS4_PS6_21rocsparse_index_base_b
	.p2align	8
	.type	_ZN9rocsparseL26coomvn_aos_segmented_loopsILj256Ei21rocsparse_complex_numIfES1_IdES3_S3_EEvlT0_NS_24const_host_device_scalarIT4_EEPKS4_PKT1_PKT2_PT3_PS4_PS6_21rocsparse_index_base_b,@function
_ZN9rocsparseL26coomvn_aos_segmented_loopsILj256Ei21rocsparse_complex_numIfES1_IdES3_S3_EEvlT0_NS_24const_host_device_scalarIT4_EEPKS4_PKT1_PKT2_PT3_PS4_PS6_21rocsparse_index_base_b: ; @_ZN9rocsparseL26coomvn_aos_segmented_loopsILj256Ei21rocsparse_complex_numIfES1_IdES3_S3_EEvlT0_NS_24const_host_device_scalarIT4_EEPKS4_PKT1_PKT2_PT3_PS4_PS6_21rocsparse_index_base_b
; %bb.0:
	s_load_dwordx2 s[34:35], s[4:5], 0x50
	s_load_dwordx2 s[0:1], s[4:5], 0x10
	s_add_u32 s2, s4, 16
	s_addc_u32 s3, s5, 0
	s_waitcnt lgkmcnt(0)
	s_bitcmp1_b32 s35, 0
	s_cselect_b32 s1, s3, s1
	s_cselect_b32 s0, s2, s0
	v_mov_b32_e32 v1, s0
	v_mov_b32_e32 v2, s1
	flat_load_dwordx4 v[1:4], v[1:2]
	s_waitcnt vmcnt(0) lgkmcnt(0)
	v_cmp_neq_f64_e32 vcc, 0, v[1:2]
	v_cmp_neq_f64_e64 s[0:1], 0, v[3:4]
	s_or_b64 s[0:1], vcc, s[0:1]
	s_and_saveexec_b64 s[2:3], s[0:1]
	s_cbranch_execz .LBB78_87
; %bb.1:
	s_load_dword s42, s[4:5], 0x8
	s_load_dwordx2 s[36:37], s[4:5], 0x0
	s_load_dwordx4 s[28:31], s[4:5], 0x20
	s_load_dwordx2 s[40:41], s[4:5], 0x30
	v_mov_b32_e32 v5, 0
	s_waitcnt lgkmcnt(0)
	s_mul_i32 s0, s6, s42
	v_mov_b32_e32 v16, 0
	v_lshl_or_b32 v15, s0, 8, v0
	v_mov_b32_e32 v6, 0
	v_cmp_gt_i64_e32 vcc, s[36:37], v[15:16]
	v_lshlrev_b64 v[11:12], 3, v[15:16]
	v_mov_b32_e32 v8, v6
	v_mov_b32_e32 v9, -1
	v_mov_b32_e32 v7, v5
	s_and_saveexec_b64 s[0:1], vcc
	s_cbranch_execz .LBB78_3
; %bb.2:
	v_mov_b32_e32 v6, s29
	v_add_co_u32_e32 v5, vcc, s28, v11
	v_addc_co_u32_e32 v6, vcc, v6, v12, vcc
	global_load_dwordx2 v[13:14], v[5:6], off glc slc
	v_mov_b32_e32 v6, s31
	v_add_co_u32_e32 v5, vcc, s30, v11
	v_addc_co_u32_e32 v6, vcc, v6, v12, vcc
	v_mov_b32_e32 v9, s41
	s_ashr_i32 s35, s34, 31
	global_load_dwordx2 v[5:6], v[5:6], off glc slc
	s_lshl_b64 s[2:3], s[34:35], 4
	v_mov_b32_e32 v10, s3
	s_waitcnt vmcnt(1)
	v_ashrrev_i32_e32 v8, 31, v14
	v_mov_b32_e32 v7, v14
	v_lshlrev_b64 v[7:8], 4, v[7:8]
	v_add_co_u32_e32 v7, vcc, s40, v7
	v_addc_co_u32_e32 v8, vcc, v9, v8, vcc
	v_subrev_co_u32_e32 v7, vcc, s2, v7
	v_subb_co_u32_e32 v8, vcc, v8, v10, vcc
	global_load_dwordx4 v[7:10], v[7:8], off
	s_waitcnt vmcnt(1)
	v_cvt_f64_f32_e32 v[16:17], v6
	v_cvt_f64_f32_e32 v[5:6], v5
	s_waitcnt vmcnt(0)
	v_mul_f64 v[18:19], v[9:10], -v[16:17]
	v_mul_f64 v[9:10], v[9:10], v[5:6]
	v_fma_f64 v[5:6], v[5:6], v[7:8], v[18:19]
	v_fma_f64 v[7:8], v[16:17], v[7:8], v[9:10]
	v_subrev_u32_e32 v9, s34, v13
.LBB78_3:
	s_or_b64 exec, exec, s[0:1]
	v_lshlrev_b32_e32 v10, 2, v0
	v_or_b32_e32 v17, 0x1000, v10
	v_lshlrev_b32_e32 v18, 4, v0
	v_cmp_eq_u32_e64 s[0:1], 0, v0
	v_cmp_ne_u32_e64 s[2:3], 0, v0
	v_add_u32_e32 v19, -4, v17
	ds_write_b32 v10, v9 offset:4096
	ds_write_b128 v18, v[5:8]
	s_waitcnt lgkmcnt(0)
	s_barrier
	s_and_saveexec_b64 s[8:9], s[2:3]
	s_cbranch_execz .LBB78_7
; %bb.4:
	ds_read_b32 v10, v19
	s_waitcnt lgkmcnt(0)
	v_cmp_eq_u32_e32 vcc, v9, v10
	s_and_saveexec_b64 s[10:11], vcc
	s_cbranch_execz .LBB78_6
; %bb.5:
	v_add_u32_e32 v10, -16, v18
	ds_read_b128 v[20:23], v10
	s_waitcnt lgkmcnt(0)
	v_add_f64 v[5:6], v[5:6], v[20:21]
	v_add_f64 v[7:8], v[7:8], v[22:23]
.LBB78_6:
	s_or_b64 exec, exec, s[10:11]
.LBB78_7:
	s_or_b64 exec, exec, s[8:9]
	v_cmp_lt_u32_e64 s[22:23], 1, v0
	v_add_u32_e32 v20, -8, v17
	s_barrier
	ds_write_b128 v18, v[5:8]
	s_waitcnt lgkmcnt(0)
	s_barrier
	s_and_saveexec_b64 s[8:9], s[22:23]
	s_cbranch_execz .LBB78_11
; %bb.8:
	ds_read_b32 v10, v20
	s_waitcnt lgkmcnt(0)
	v_cmp_eq_u32_e32 vcc, v9, v10
	s_and_saveexec_b64 s[10:11], vcc
	s_cbranch_execz .LBB78_10
; %bb.9:
	v_subrev_u32_e32 v10, 32, v18
	ds_read_b128 v[21:24], v10
	s_waitcnt lgkmcnt(0)
	v_add_f64 v[5:6], v[5:6], v[21:22]
	v_add_f64 v[7:8], v[7:8], v[23:24]
.LBB78_10:
	s_or_b64 exec, exec, s[10:11]
.LBB78_11:
	s_or_b64 exec, exec, s[8:9]
	v_cmp_lt_u32_e64 s[8:9], 3, v0
	v_add_u32_e32 v21, -16, v17
	s_barrier
	ds_write_b128 v18, v[5:8]
	s_waitcnt lgkmcnt(0)
	s_barrier
	s_and_saveexec_b64 s[10:11], s[8:9]
	s_cbranch_execz .LBB78_15
; %bb.12:
	ds_read_b32 v10, v21
	s_waitcnt lgkmcnt(0)
	v_cmp_eq_u32_e32 vcc, v9, v10
	s_and_saveexec_b64 s[12:13], vcc
	s_cbranch_execz .LBB78_14
; %bb.13:
	v_subrev_u32_e32 v10, 64, v18
	ds_read_b128 v[22:25], v10
	s_waitcnt lgkmcnt(0)
	v_add_f64 v[5:6], v[5:6], v[22:23]
	v_add_f64 v[7:8], v[7:8], v[24:25]
.LBB78_14:
	s_or_b64 exec, exec, s[12:13]
.LBB78_15:
	s_or_b64 exec, exec, s[10:11]
	v_cmp_lt_u32_e64 s[10:11], 7, v0
	v_subrev_u32_e32 v22, 32, v17
	s_barrier
	ds_write_b128 v18, v[5:8]
	s_waitcnt lgkmcnt(0)
	s_barrier
	s_and_saveexec_b64 s[12:13], s[10:11]
	s_cbranch_execz .LBB78_19
; %bb.16:
	ds_read_b32 v10, v22
	s_waitcnt lgkmcnt(0)
	v_cmp_eq_u32_e32 vcc, v9, v10
	s_and_saveexec_b64 s[14:15], vcc
	s_cbranch_execz .LBB78_18
; %bb.17:
	v_add_u32_e32 v10, 0xffffff80, v18
	ds_read_b128 v[23:26], v10
	s_waitcnt lgkmcnt(0)
	v_add_f64 v[5:6], v[5:6], v[23:24]
	v_add_f64 v[7:8], v[7:8], v[25:26]
.LBB78_18:
	s_or_b64 exec, exec, s[14:15]
.LBB78_19:
	s_or_b64 exec, exec, s[12:13]
	v_cmp_lt_u32_e64 s[12:13], 15, v0
	v_subrev_u32_e32 v23, 64, v17
	s_barrier
	ds_write_b128 v18, v[5:8]
	s_waitcnt lgkmcnt(0)
	s_barrier
	s_and_saveexec_b64 s[14:15], s[12:13]
	s_cbranch_execz .LBB78_23
; %bb.20:
	ds_read_b32 v10, v23
	s_waitcnt lgkmcnt(0)
	v_cmp_eq_u32_e32 vcc, v9, v10
	s_and_saveexec_b64 s[16:17], vcc
	s_cbranch_execz .LBB78_22
; %bb.21:
	v_add_u32_e32 v10, 0xffffff00, v18
	ds_read_b128 v[24:27], v10
	s_waitcnt lgkmcnt(0)
	v_add_f64 v[5:6], v[5:6], v[24:25]
	v_add_f64 v[7:8], v[7:8], v[26:27]
.LBB78_22:
	s_or_b64 exec, exec, s[16:17]
.LBB78_23:
	s_or_b64 exec, exec, s[14:15]
	v_cmp_lt_u32_e64 s[14:15], 31, v0
	s_barrier
	ds_write_b128 v18, v[5:8]
	s_waitcnt lgkmcnt(0)
	s_barrier
	s_and_saveexec_b64 s[16:17], s[14:15]
	s_cbranch_execz .LBB78_27
; %bb.24:
	v_add_u32_e32 v10, 0xffffff80, v17
	ds_read_b32 v10, v10
	s_waitcnt lgkmcnt(0)
	v_cmp_eq_u32_e32 vcc, v9, v10
	s_and_saveexec_b64 s[18:19], vcc
	s_cbranch_execz .LBB78_26
; %bb.25:
	v_add_u32_e32 v10, 0xfffffe00, v18
	ds_read_b128 v[24:27], v10
	s_waitcnt lgkmcnt(0)
	v_add_f64 v[5:6], v[5:6], v[24:25]
	v_add_f64 v[7:8], v[7:8], v[26:27]
.LBB78_26:
	s_or_b64 exec, exec, s[18:19]
.LBB78_27:
	s_or_b64 exec, exec, s[16:17]
	v_cmp_lt_u32_e64 s[16:17], 63, v0
	s_barrier
	ds_write_b128 v18, v[5:8]
	s_waitcnt lgkmcnt(0)
	s_barrier
	s_and_saveexec_b64 s[18:19], s[16:17]
	s_cbranch_execz .LBB78_31
; %bb.28:
	v_add_u32_e32 v10, 0xffffff00, v17
	ds_read_b32 v10, v10
	s_waitcnt lgkmcnt(0)
	v_cmp_eq_u32_e32 vcc, v9, v10
	s_and_saveexec_b64 s[20:21], vcc
	s_cbranch_execz .LBB78_30
; %bb.29:
	v_add_u32_e32 v10, 0xfffffc00, v18
	ds_read_b128 v[24:27], v10
	s_waitcnt lgkmcnt(0)
	v_add_f64 v[5:6], v[5:6], v[24:25]
	v_add_f64 v[7:8], v[7:8], v[26:27]
.LBB78_30:
	s_or_b64 exec, exec, s[20:21]
.LBB78_31:
	s_or_b64 exec, exec, s[18:19]
	s_load_dwordx2 s[38:39], s[4:5], 0x38
	s_movk_i32 s7, 0x7f
	v_cmp_lt_u32_e64 s[18:19], s7, v0
	s_waitcnt lgkmcnt(0)
	s_barrier
	ds_write_b128 v18, v[5:8]
	s_waitcnt lgkmcnt(0)
	s_barrier
	s_and_saveexec_b64 s[20:21], s[18:19]
	s_cbranch_execz .LBB78_35
; %bb.32:
	v_add_u32_e32 v10, 0xfffffe00, v17
	ds_read_b32 v10, v10
	s_waitcnt lgkmcnt(0)
	v_cmp_eq_u32_e32 vcc, v9, v10
	s_and_saveexec_b64 s[24:25], vcc
	s_cbranch_execz .LBB78_34
; %bb.33:
	v_add_u32_e32 v10, 0xfffff800, v18
	ds_read_b128 v[24:27], v10
	s_waitcnt lgkmcnt(0)
	v_add_f64 v[5:6], v[5:6], v[24:25]
	v_add_f64 v[7:8], v[7:8], v[26:27]
.LBB78_34:
	s_or_b64 exec, exec, s[24:25]
.LBB78_35:
	s_or_b64 exec, exec, s[20:21]
	s_movk_i32 s7, 0xff
	v_cmp_gt_u32_e64 s[20:21], s7, v0
	s_barrier
	ds_write_b128 v18, v[5:8]
	s_waitcnt lgkmcnt(0)
	s_barrier
	s_and_saveexec_b64 s[26:27], s[20:21]
	s_cbranch_execz .LBB78_38
; %bb.36:
	ds_read_b32 v10, v17 offset:4
	v_cmp_lt_i32_e64 s[24:25], -1, v9
	s_waitcnt lgkmcnt(0)
	v_cmp_ne_u32_e32 vcc, v9, v10
	s_and_b64 s[24:25], s[24:25], vcc
	s_and_b64 exec, exec, s[24:25]
	s_cbranch_execz .LBB78_38
; %bb.37:
	v_mov_b32_e32 v10, 0
	v_lshlrev_b64 v[13:14], 4, v[9:10]
	v_mov_b32_e32 v10, s39
	v_add_co_u32_e32 v13, vcc, s38, v13
	v_addc_co_u32_e32 v14, vcc, v10, v14, vcc
	global_load_dwordx4 v[24:27], v[13:14], off
	s_waitcnt vmcnt(0)
	v_fma_f64 v[24:25], v[1:2], v[5:6], v[24:25]
	v_fma_f64 v[26:27], v[3:4], v[5:6], v[26:27]
	v_fma_f64 v[24:25], -v[3:4], v[7:8], v[24:25]
	v_fma_f64 v[26:27], v[1:2], v[7:8], v[26:27]
	global_store_dwordx4 v[13:14], v[24:27], off
.LBB78_38:
	s_or_b64 exec, exec, s[26:27]
	s_load_dwordx4 s[24:27], s[4:5], 0x40
	s_cmp_lt_i32 s42, 2
	s_cbranch_scc1 .LBB78_85
; %bb.39:
	s_ashr_i32 s35, s34, 31
	s_lshl_b64 s[4:5], s[34:35], 4
	s_sub_u32 s7, s40, s4
	s_movk_i32 s4, 0x800
	v_add_co_u32_e32 v5, vcc, s4, v11
	v_addc_co_u32_e32 v6, vcc, 0, v12, vcc
	v_mov_b32_e32 v7, s31
	v_add_co_u32_e32 v11, vcc, s30, v5
	v_addc_co_u32_e32 v12, vcc, v7, v6, vcc
	v_mov_b32_e32 v7, s29
	v_add_co_u32_e32 v13, vcc, s28, v5
	v_addc_co_u32_e32 v14, vcc, v7, v6, vcc
	s_movk_i32 s4, 0x100
	v_add_co_u32_e32 v15, vcc, s4, v15
	s_subb_u32 s33, s41, s5
	v_add_u32_e32 v24, 0xffffff80, v17
	v_add_u32_e32 v25, 0xfffffe00, v18
	;; [unrolled: 1-line block ×6, first 2 shown]
	v_addc_co_u32_e64 v16, s[4:5], 0, 0, vcc
	s_add_i32 s35, s42, -1
	v_mov_b32_e32 v10, 0
	s_mov_b32 s29, 0
	s_branch .LBB78_41
.LBB78_40:                              ;   in Loop: Header=BB78_41 Depth=1
	s_or_b64 exec, exec, s[30:31]
	v_add_co_u32_e32 v11, vcc, 0x800, v11
	v_addc_co_u32_e32 v12, vcc, 0, v12, vcc
	v_add_co_u32_e32 v13, vcc, 0x800, v13
	v_addc_co_u32_e32 v14, vcc, 0, v14, vcc
	v_add_co_u32_e32 v15, vcc, 0x100, v15
	s_add_i32 s35, s35, -1
	s_cmp_eq_u32 s35, 0
	v_addc_co_u32_e32 v16, vcc, 0, v16, vcc
	s_cbranch_scc1 .LBB78_85
.LBB78_41:                              ; =>This Inner Loop Header: Depth=1
	v_cmp_gt_i64_e32 vcc, s[36:37], v[15:16]
	v_mov_b32_e32 v5, 0
	v_mov_b32_e32 v7, 0
	;; [unrolled: 1-line block ×4, first 2 shown]
	v_mov_b32_e32 v9, -1
	s_and_saveexec_b64 s[4:5], vcc
	s_cbranch_execz .LBB78_43
; %bb.42:                               ;   in Loop: Header=BB78_41 Depth=1
	global_load_dwordx2 v[34:35], v[13:14], off glc slc
	global_load_dwordx2 v[5:6], v[11:12], off glc slc
	v_mov_b32_e32 v9, s33
	s_waitcnt vmcnt(1)
	v_ashrrev_i32_e32 v8, 31, v35
	v_mov_b32_e32 v7, v35
	v_lshlrev_b64 v[7:8], 4, v[7:8]
	v_add_co_u32_e32 v7, vcc, s7, v7
	v_addc_co_u32_e32 v8, vcc, v9, v8, vcc
	global_load_dwordx4 v[30:33], v[7:8], off
	s_waitcnt vmcnt(1)
	v_cvt_f64_f32_e32 v[7:8], v6
	v_cvt_f64_f32_e32 v[5:6], v5
	v_subrev_u32_e32 v9, s34, v34
	s_waitcnt vmcnt(0)
	v_mul_f64 v[35:36], v[32:33], -v[7:8]
	v_mul_f64 v[32:33], v[32:33], v[5:6]
	v_fma_f64 v[5:6], v[5:6], v[30:31], v[35:36]
	v_fma_f64 v[7:8], v[7:8], v[30:31], v[32:33]
.LBB78_43:                              ;   in Loop: Header=BB78_41 Depth=1
	s_or_b64 exec, exec, s[4:5]
	s_and_saveexec_b64 s[4:5], s[0:1]
	s_cbranch_execz .LBB78_50
; %bb.44:                               ;   in Loop: Header=BB78_41 Depth=1
	ds_read_b32 v30, v10 offset:5116
	s_waitcnt lgkmcnt(0)
	v_readfirstlane_b32 s28, v30
	v_cmp_ne_u32_e32 vcc, v9, v30
	s_and_saveexec_b64 s[30:31], vcc
	s_xor_b64 s[30:31], exec, s[30:31]
	s_cbranch_execz .LBB78_47
; %bb.45:                               ;   in Loop: Header=BB78_41 Depth=1
	s_cmp_lt_i32 s28, 0
	s_cbranch_scc1 .LBB78_47
; %bb.46:                               ;   in Loop: Header=BB78_41 Depth=1
	s_lshl_b64 s[40:41], s[28:29], 4
	s_add_u32 s40, s38, s40
	s_addc_u32 s41, s39, s41
	global_load_dwordx4 v[30:33], v10, s[40:41]
	ds_read_b128 v[34:37], v10 offset:4080
	s_waitcnt vmcnt(0) lgkmcnt(0)
	v_fma_f64 v[30:31], v[1:2], v[34:35], v[30:31]
	v_fma_f64 v[32:33], v[3:4], v[34:35], v[32:33]
	v_fma_f64 v[30:31], -v[3:4], v[36:37], v[30:31]
	v_fma_f64 v[32:33], v[1:2], v[36:37], v[32:33]
	global_store_dwordx4 v10, v[30:33], s[40:41]
.LBB78_47:                              ;   in Loop: Header=BB78_41 Depth=1
	s_andn2_saveexec_b64 s[30:31], s[30:31]
	s_cbranch_execz .LBB78_49
; %bb.48:                               ;   in Loop: Header=BB78_41 Depth=1
	ds_read_b128 v[30:33], v10 offset:4080
	s_waitcnt lgkmcnt(0)
	v_add_f64 v[5:6], v[5:6], v[30:31]
	v_add_f64 v[7:8], v[7:8], v[32:33]
.LBB78_49:                              ;   in Loop: Header=BB78_41 Depth=1
	s_or_b64 exec, exec, s[30:31]
.LBB78_50:                              ;   in Loop: Header=BB78_41 Depth=1
	s_or_b64 exec, exec, s[4:5]
	s_waitcnt vmcnt(0) lgkmcnt(0)
	s_barrier
	ds_write_b32 v17, v9
	ds_write_b128 v18, v[5:8]
	s_waitcnt lgkmcnt(0)
	s_barrier
	s_and_saveexec_b64 s[4:5], s[2:3]
	s_cbranch_execz .LBB78_54
; %bb.51:                               ;   in Loop: Header=BB78_41 Depth=1
	ds_read_b32 v30, v19
	s_waitcnt lgkmcnt(0)
	v_cmp_eq_u32_e32 vcc, v9, v30
	s_and_saveexec_b64 s[30:31], vcc
	s_cbranch_execz .LBB78_53
; %bb.52:                               ;   in Loop: Header=BB78_41 Depth=1
	v_add_u32_e32 v30, -16, v18
	ds_read_b128 v[30:33], v30
	s_waitcnt lgkmcnt(0)
	v_add_f64 v[5:6], v[5:6], v[30:31]
	v_add_f64 v[7:8], v[7:8], v[32:33]
.LBB78_53:                              ;   in Loop: Header=BB78_41 Depth=1
	s_or_b64 exec, exec, s[30:31]
.LBB78_54:                              ;   in Loop: Header=BB78_41 Depth=1
	s_or_b64 exec, exec, s[4:5]
	s_barrier
	ds_write_b128 v18, v[5:8]
	s_waitcnt lgkmcnt(0)
	s_barrier
	s_and_saveexec_b64 s[4:5], s[22:23]
	s_cbranch_execz .LBB78_58
; %bb.55:                               ;   in Loop: Header=BB78_41 Depth=1
	ds_read_b32 v30, v20
	s_waitcnt lgkmcnt(0)
	v_cmp_eq_u32_e32 vcc, v9, v30
	s_and_saveexec_b64 s[30:31], vcc
	s_cbranch_execz .LBB78_57
; %bb.56:                               ;   in Loop: Header=BB78_41 Depth=1
	v_subrev_u32_e32 v30, 32, v18
	ds_read_b128 v[30:33], v30
	s_waitcnt lgkmcnt(0)
	v_add_f64 v[5:6], v[5:6], v[30:31]
	v_add_f64 v[7:8], v[7:8], v[32:33]
.LBB78_57:                              ;   in Loop: Header=BB78_41 Depth=1
	s_or_b64 exec, exec, s[30:31]
.LBB78_58:                              ;   in Loop: Header=BB78_41 Depth=1
	s_or_b64 exec, exec, s[4:5]
	s_barrier
	ds_write_b128 v18, v[5:8]
	s_waitcnt lgkmcnt(0)
	s_barrier
	s_and_saveexec_b64 s[4:5], s[8:9]
	s_cbranch_execz .LBB78_62
; %bb.59:                               ;   in Loop: Header=BB78_41 Depth=1
	ds_read_b32 v30, v21
	s_waitcnt lgkmcnt(0)
	v_cmp_eq_u32_e32 vcc, v9, v30
	s_and_saveexec_b64 s[30:31], vcc
	s_cbranch_execz .LBB78_61
; %bb.60:                               ;   in Loop: Header=BB78_41 Depth=1
	v_subrev_u32_e32 v30, 64, v18
	ds_read_b128 v[30:33], v30
	s_waitcnt lgkmcnt(0)
	v_add_f64 v[5:6], v[5:6], v[30:31]
	v_add_f64 v[7:8], v[7:8], v[32:33]
.LBB78_61:                              ;   in Loop: Header=BB78_41 Depth=1
	s_or_b64 exec, exec, s[30:31]
.LBB78_62:                              ;   in Loop: Header=BB78_41 Depth=1
	s_or_b64 exec, exec, s[4:5]
	s_barrier
	ds_write_b128 v18, v[5:8]
	s_waitcnt lgkmcnt(0)
	s_barrier
	s_and_saveexec_b64 s[4:5], s[10:11]
	s_cbranch_execz .LBB78_66
; %bb.63:                               ;   in Loop: Header=BB78_41 Depth=1
	ds_read_b32 v30, v22
	s_waitcnt lgkmcnt(0)
	v_cmp_eq_u32_e32 vcc, v9, v30
	s_and_saveexec_b64 s[30:31], vcc
	s_cbranch_execz .LBB78_65
; %bb.64:                               ;   in Loop: Header=BB78_41 Depth=1
	v_add_u32_e32 v30, 0xffffff80, v18
	ds_read_b128 v[30:33], v30
	s_waitcnt lgkmcnt(0)
	v_add_f64 v[5:6], v[5:6], v[30:31]
	v_add_f64 v[7:8], v[7:8], v[32:33]
.LBB78_65:                              ;   in Loop: Header=BB78_41 Depth=1
	s_or_b64 exec, exec, s[30:31]
.LBB78_66:                              ;   in Loop: Header=BB78_41 Depth=1
	s_or_b64 exec, exec, s[4:5]
	s_barrier
	ds_write_b128 v18, v[5:8]
	s_waitcnt lgkmcnt(0)
	s_barrier
	s_and_saveexec_b64 s[4:5], s[12:13]
	s_cbranch_execz .LBB78_70
; %bb.67:                               ;   in Loop: Header=BB78_41 Depth=1
	ds_read_b32 v30, v23
	s_waitcnt lgkmcnt(0)
	v_cmp_eq_u32_e32 vcc, v9, v30
	s_and_saveexec_b64 s[30:31], vcc
	s_cbranch_execz .LBB78_69
; %bb.68:                               ;   in Loop: Header=BB78_41 Depth=1
	v_add_u32_e32 v30, 0xffffff00, v18
	ds_read_b128 v[30:33], v30
	s_waitcnt lgkmcnt(0)
	v_add_f64 v[5:6], v[5:6], v[30:31]
	v_add_f64 v[7:8], v[7:8], v[32:33]
.LBB78_69:                              ;   in Loop: Header=BB78_41 Depth=1
	s_or_b64 exec, exec, s[30:31]
.LBB78_70:                              ;   in Loop: Header=BB78_41 Depth=1
	s_or_b64 exec, exec, s[4:5]
	s_barrier
	ds_write_b128 v18, v[5:8]
	s_waitcnt lgkmcnt(0)
	s_barrier
	s_and_saveexec_b64 s[4:5], s[14:15]
	s_cbranch_execz .LBB78_74
; %bb.71:                               ;   in Loop: Header=BB78_41 Depth=1
	ds_read_b32 v30, v24
	s_waitcnt lgkmcnt(0)
	v_cmp_eq_u32_e32 vcc, v9, v30
	s_and_saveexec_b64 s[30:31], vcc
	s_cbranch_execz .LBB78_73
; %bb.72:                               ;   in Loop: Header=BB78_41 Depth=1
	ds_read_b128 v[30:33], v25
	s_waitcnt lgkmcnt(0)
	v_add_f64 v[5:6], v[5:6], v[30:31]
	v_add_f64 v[7:8], v[7:8], v[32:33]
.LBB78_73:                              ;   in Loop: Header=BB78_41 Depth=1
	s_or_b64 exec, exec, s[30:31]
.LBB78_74:                              ;   in Loop: Header=BB78_41 Depth=1
	s_or_b64 exec, exec, s[4:5]
	s_barrier
	ds_write_b128 v18, v[5:8]
	s_waitcnt lgkmcnt(0)
	s_barrier
	s_and_saveexec_b64 s[4:5], s[16:17]
	s_cbranch_execz .LBB78_78
; %bb.75:                               ;   in Loop: Header=BB78_41 Depth=1
	ds_read_b32 v30, v26
	s_waitcnt lgkmcnt(0)
	v_cmp_eq_u32_e32 vcc, v9, v30
	s_and_saveexec_b64 s[30:31], vcc
	s_cbranch_execz .LBB78_77
; %bb.76:                               ;   in Loop: Header=BB78_41 Depth=1
	ds_read_b128 v[30:33], v27
	s_waitcnt lgkmcnt(0)
	v_add_f64 v[5:6], v[5:6], v[30:31]
	v_add_f64 v[7:8], v[7:8], v[32:33]
.LBB78_77:                              ;   in Loop: Header=BB78_41 Depth=1
	s_or_b64 exec, exec, s[30:31]
.LBB78_78:                              ;   in Loop: Header=BB78_41 Depth=1
	s_or_b64 exec, exec, s[4:5]
	s_barrier
	ds_write_b128 v18, v[5:8]
	s_waitcnt lgkmcnt(0)
	s_barrier
	s_and_saveexec_b64 s[4:5], s[18:19]
	s_cbranch_execz .LBB78_82
; %bb.79:                               ;   in Loop: Header=BB78_41 Depth=1
	ds_read_b32 v30, v28
	s_waitcnt lgkmcnt(0)
	v_cmp_eq_u32_e32 vcc, v9, v30
	s_and_saveexec_b64 s[30:31], vcc
	s_cbranch_execz .LBB78_81
; %bb.80:                               ;   in Loop: Header=BB78_41 Depth=1
	ds_read_b128 v[30:33], v29
	s_waitcnt lgkmcnt(0)
	v_add_f64 v[5:6], v[5:6], v[30:31]
	v_add_f64 v[7:8], v[7:8], v[32:33]
.LBB78_81:                              ;   in Loop: Header=BB78_41 Depth=1
	s_or_b64 exec, exec, s[30:31]
.LBB78_82:                              ;   in Loop: Header=BB78_41 Depth=1
	s_or_b64 exec, exec, s[4:5]
	s_barrier
	ds_write_b128 v18, v[5:8]
	s_waitcnt lgkmcnt(0)
	s_barrier
	s_and_saveexec_b64 s[30:31], s[20:21]
	s_cbranch_execz .LBB78_40
; %bb.83:                               ;   in Loop: Header=BB78_41 Depth=1
	ds_read_b32 v30, v17 offset:4
	v_cmp_lt_i32_e64 s[4:5], -1, v9
	s_waitcnt lgkmcnt(0)
	v_cmp_ne_u32_e32 vcc, v9, v30
	s_and_b64 s[4:5], s[4:5], vcc
	s_and_b64 exec, exec, s[4:5]
	s_cbranch_execz .LBB78_40
; %bb.84:                               ;   in Loop: Header=BB78_41 Depth=1
	v_lshlrev_b64 v[30:31], 4, v[9:10]
	v_mov_b32_e32 v32, s39
	v_add_co_u32_e32 v34, vcc, s38, v30
	v_addc_co_u32_e32 v35, vcc, v32, v31, vcc
	global_load_dwordx4 v[30:33], v[34:35], off
	s_waitcnt vmcnt(0)
	v_fma_f64 v[30:31], v[1:2], v[5:6], v[30:31]
	v_fma_f64 v[32:33], v[3:4], v[5:6], v[32:33]
	v_fma_f64 v[30:31], -v[3:4], v[7:8], v[30:31]
	v_fma_f64 v[32:33], v[1:2], v[7:8], v[32:33]
	global_store_dwordx4 v[34:35], v[30:33], off
	s_branch .LBB78_40
.LBB78_85:
	s_movk_i32 s0, 0xff
	v_cmp_eq_u32_e32 vcc, s0, v0
	s_and_b64 exec, exec, vcc
	s_cbranch_execz .LBB78_87
; %bb.86:
	v_mul_f64 v[10:11], v[7:8], -v[3:4]
	v_mul_f64 v[7:8], v[1:2], v[7:8]
	s_mov_b32 s7, 0
	s_lshl_b64 s[0:1], s[6:7], 2
	s_waitcnt lgkmcnt(0)
	s_add_u32 s0, s24, s0
	s_addc_u32 s1, s25, s1
	v_fma_f64 v[0:1], v[1:2], v[5:6], v[10:11]
	v_fma_f64 v[2:3], v[3:4], v[5:6], v[7:8]
	v_mov_b32_e32 v4, 0
	global_store_dword v4, v9, s[0:1] glc slc
	s_lshl_b64 s[0:1], s[6:7], 4
	s_add_u32 s0, s26, s0
	s_addc_u32 s1, s27, s1
	global_store_dwordx4 v4, v[0:3], s[0:1] glc slc
.LBB78_87:
	s_endpgm
	.section	.rodata,"a",@progbits
	.p2align	6, 0x0
	.amdhsa_kernel _ZN9rocsparseL26coomvn_aos_segmented_loopsILj256Ei21rocsparse_complex_numIfES1_IdES3_S3_EEvlT0_NS_24const_host_device_scalarIT4_EEPKS4_PKT1_PKT2_PT3_PS4_PS6_21rocsparse_index_base_b
		.amdhsa_group_segment_fixed_size 5120
		.amdhsa_private_segment_fixed_size 0
		.amdhsa_kernarg_size 88
		.amdhsa_user_sgpr_count 6
		.amdhsa_user_sgpr_private_segment_buffer 1
		.amdhsa_user_sgpr_dispatch_ptr 0
		.amdhsa_user_sgpr_queue_ptr 0
		.amdhsa_user_sgpr_kernarg_segment_ptr 1
		.amdhsa_user_sgpr_dispatch_id 0
		.amdhsa_user_sgpr_flat_scratch_init 0
		.amdhsa_user_sgpr_private_segment_size 0
		.amdhsa_uses_dynamic_stack 0
		.amdhsa_system_sgpr_private_segment_wavefront_offset 0
		.amdhsa_system_sgpr_workgroup_id_x 1
		.amdhsa_system_sgpr_workgroup_id_y 0
		.amdhsa_system_sgpr_workgroup_id_z 0
		.amdhsa_system_sgpr_workgroup_info 0
		.amdhsa_system_vgpr_workitem_id 0
		.amdhsa_next_free_vgpr 38
		.amdhsa_next_free_sgpr 43
		.amdhsa_reserve_vcc 1
		.amdhsa_reserve_flat_scratch 0
		.amdhsa_float_round_mode_32 0
		.amdhsa_float_round_mode_16_64 0
		.amdhsa_float_denorm_mode_32 3
		.amdhsa_float_denorm_mode_16_64 3
		.amdhsa_dx10_clamp 1
		.amdhsa_ieee_mode 1
		.amdhsa_fp16_overflow 0
		.amdhsa_exception_fp_ieee_invalid_op 0
		.amdhsa_exception_fp_denorm_src 0
		.amdhsa_exception_fp_ieee_div_zero 0
		.amdhsa_exception_fp_ieee_overflow 0
		.amdhsa_exception_fp_ieee_underflow 0
		.amdhsa_exception_fp_ieee_inexact 0
		.amdhsa_exception_int_div_zero 0
	.end_amdhsa_kernel
	.section	.text._ZN9rocsparseL26coomvn_aos_segmented_loopsILj256Ei21rocsparse_complex_numIfES1_IdES3_S3_EEvlT0_NS_24const_host_device_scalarIT4_EEPKS4_PKT1_PKT2_PT3_PS4_PS6_21rocsparse_index_base_b,"axG",@progbits,_ZN9rocsparseL26coomvn_aos_segmented_loopsILj256Ei21rocsparse_complex_numIfES1_IdES3_S3_EEvlT0_NS_24const_host_device_scalarIT4_EEPKS4_PKT1_PKT2_PT3_PS4_PS6_21rocsparse_index_base_b,comdat
.Lfunc_end78:
	.size	_ZN9rocsparseL26coomvn_aos_segmented_loopsILj256Ei21rocsparse_complex_numIfES1_IdES3_S3_EEvlT0_NS_24const_host_device_scalarIT4_EEPKS4_PKT1_PKT2_PT3_PS4_PS6_21rocsparse_index_base_b, .Lfunc_end78-_ZN9rocsparseL26coomvn_aos_segmented_loopsILj256Ei21rocsparse_complex_numIfES1_IdES3_S3_EEvlT0_NS_24const_host_device_scalarIT4_EEPKS4_PKT1_PKT2_PT3_PS4_PS6_21rocsparse_index_base_b
                                        ; -- End function
	.set _ZN9rocsparseL26coomvn_aos_segmented_loopsILj256Ei21rocsparse_complex_numIfES1_IdES3_S3_EEvlT0_NS_24const_host_device_scalarIT4_EEPKS4_PKT1_PKT2_PT3_PS4_PS6_21rocsparse_index_base_b.num_vgpr, 38
	.set _ZN9rocsparseL26coomvn_aos_segmented_loopsILj256Ei21rocsparse_complex_numIfES1_IdES3_S3_EEvlT0_NS_24const_host_device_scalarIT4_EEPKS4_PKT1_PKT2_PT3_PS4_PS6_21rocsparse_index_base_b.num_agpr, 0
	.set _ZN9rocsparseL26coomvn_aos_segmented_loopsILj256Ei21rocsparse_complex_numIfES1_IdES3_S3_EEvlT0_NS_24const_host_device_scalarIT4_EEPKS4_PKT1_PKT2_PT3_PS4_PS6_21rocsparse_index_base_b.numbered_sgpr, 43
	.set _ZN9rocsparseL26coomvn_aos_segmented_loopsILj256Ei21rocsparse_complex_numIfES1_IdES3_S3_EEvlT0_NS_24const_host_device_scalarIT4_EEPKS4_PKT1_PKT2_PT3_PS4_PS6_21rocsparse_index_base_b.num_named_barrier, 0
	.set _ZN9rocsparseL26coomvn_aos_segmented_loopsILj256Ei21rocsparse_complex_numIfES1_IdES3_S3_EEvlT0_NS_24const_host_device_scalarIT4_EEPKS4_PKT1_PKT2_PT3_PS4_PS6_21rocsparse_index_base_b.private_seg_size, 0
	.set _ZN9rocsparseL26coomvn_aos_segmented_loopsILj256Ei21rocsparse_complex_numIfES1_IdES3_S3_EEvlT0_NS_24const_host_device_scalarIT4_EEPKS4_PKT1_PKT2_PT3_PS4_PS6_21rocsparse_index_base_b.uses_vcc, 1
	.set _ZN9rocsparseL26coomvn_aos_segmented_loopsILj256Ei21rocsparse_complex_numIfES1_IdES3_S3_EEvlT0_NS_24const_host_device_scalarIT4_EEPKS4_PKT1_PKT2_PT3_PS4_PS6_21rocsparse_index_base_b.uses_flat_scratch, 0
	.set _ZN9rocsparseL26coomvn_aos_segmented_loopsILj256Ei21rocsparse_complex_numIfES1_IdES3_S3_EEvlT0_NS_24const_host_device_scalarIT4_EEPKS4_PKT1_PKT2_PT3_PS4_PS6_21rocsparse_index_base_b.has_dyn_sized_stack, 0
	.set _ZN9rocsparseL26coomvn_aos_segmented_loopsILj256Ei21rocsparse_complex_numIfES1_IdES3_S3_EEvlT0_NS_24const_host_device_scalarIT4_EEPKS4_PKT1_PKT2_PT3_PS4_PS6_21rocsparse_index_base_b.has_recursion, 0
	.set _ZN9rocsparseL26coomvn_aos_segmented_loopsILj256Ei21rocsparse_complex_numIfES1_IdES3_S3_EEvlT0_NS_24const_host_device_scalarIT4_EEPKS4_PKT1_PKT2_PT3_PS4_PS6_21rocsparse_index_base_b.has_indirect_call, 0
	.section	.AMDGPU.csdata,"",@progbits
; Kernel info:
; codeLenInByte = 2892
; TotalNumSgprs: 47
; NumVgprs: 38
; ScratchSize: 0
; MemoryBound: 0
; FloatMode: 240
; IeeeMode: 1
; LDSByteSize: 5120 bytes/workgroup (compile time only)
; SGPRBlocks: 5
; VGPRBlocks: 9
; NumSGPRsForWavesPerEU: 47
; NumVGPRsForWavesPerEU: 38
; Occupancy: 6
; WaveLimiterHint : 1
; COMPUTE_PGM_RSRC2:SCRATCH_EN: 0
; COMPUTE_PGM_RSRC2:USER_SGPR: 6
; COMPUTE_PGM_RSRC2:TRAP_HANDLER: 0
; COMPUTE_PGM_RSRC2:TGID_X_EN: 1
; COMPUTE_PGM_RSRC2:TGID_Y_EN: 0
; COMPUTE_PGM_RSRC2:TGID_Z_EN: 0
; COMPUTE_PGM_RSRC2:TIDIG_COMP_CNT: 0
	.section	.text._ZN9rocsparseL23coomvn_aos_atomic_loopsILj256ELj1El21rocsparse_complex_numIfES1_IdES3_S3_EEvlNS_24const_host_device_scalarIT5_EEPKT1_PKT2_PKT3_PT4_21rocsparse_index_base_b,"axG",@progbits,_ZN9rocsparseL23coomvn_aos_atomic_loopsILj256ELj1El21rocsparse_complex_numIfES1_IdES3_S3_EEvlNS_24const_host_device_scalarIT5_EEPKT1_PKT2_PKT3_PT4_21rocsparse_index_base_b,comdat
	.globl	_ZN9rocsparseL23coomvn_aos_atomic_loopsILj256ELj1El21rocsparse_complex_numIfES1_IdES3_S3_EEvlNS_24const_host_device_scalarIT5_EEPKT1_PKT2_PKT3_PT4_21rocsparse_index_base_b ; -- Begin function _ZN9rocsparseL23coomvn_aos_atomic_loopsILj256ELj1El21rocsparse_complex_numIfES1_IdES3_S3_EEvlNS_24const_host_device_scalarIT5_EEPKT1_PKT2_PKT3_PT4_21rocsparse_index_base_b
	.p2align	8
	.type	_ZN9rocsparseL23coomvn_aos_atomic_loopsILj256ELj1El21rocsparse_complex_numIfES1_IdES3_S3_EEvlNS_24const_host_device_scalarIT5_EEPKT1_PKT2_PKT3_PT4_21rocsparse_index_base_b,@function
_ZN9rocsparseL23coomvn_aos_atomic_loopsILj256ELj1El21rocsparse_complex_numIfES1_IdES3_S3_EEvlNS_24const_host_device_scalarIT5_EEPKT1_PKT2_PKT3_PT4_21rocsparse_index_base_b: ; @_ZN9rocsparseL23coomvn_aos_atomic_loopsILj256ELj1El21rocsparse_complex_numIfES1_IdES3_S3_EEvlNS_24const_host_device_scalarIT5_EEPKT1_PKT2_PKT3_PT4_21rocsparse_index_base_b
; %bb.0:
	s_load_dwordx2 s[2:3], s[4:5], 0x38
	s_load_dwordx4 s[8:11], s[4:5], 0x0
	s_or_b32 s0, s4, 8
	s_waitcnt lgkmcnt(0)
	s_bitcmp1_b32 s3, 0
	s_cselect_b32 s1, s5, s11
	s_cselect_b32 s0, s0, s10
	v_mov_b32_e32 v1, s0
	v_mov_b32_e32 v2, s1
	flat_load_dwordx4 v[1:4], v[1:2]
	s_waitcnt vmcnt(0) lgkmcnt(0)
	v_cmp_neq_f64_e32 vcc, 0, v[1:2]
	v_cmp_neq_f64_e64 s[0:1], 0, v[3:4]
	s_or_b64 s[0:1], vcc, s[0:1]
	s_and_saveexec_b64 s[10:11], s[0:1]
	s_cbranch_execz .LBB79_46
; %bb.1:
	v_mov_b32_e32 v5, 0
	v_lshl_or_b32 v9, s6, 8, v0
	v_mov_b32_e32 v10, 0
	v_mov_b32_e32 v6, 0
	v_cmp_gt_i64_e32 vcc, s[8:9], v[9:10]
	v_mov_b32_e32 v13, -1
	v_mov_b32_e32 v8, v6
	v_mov_b32_e32 v14, -1
	v_mov_b32_e32 v7, v5
	s_and_saveexec_b64 s[0:1], vcc
	s_cbranch_execz .LBB79_3
; %bb.2:
	s_load_dwordx4 s[8:11], s[4:5], 0x18
	s_load_dwordx2 s[6:7], s[4:5], 0x28
	v_lshlrev_b64 v[5:6], 4, v[9:10]
	s_waitcnt lgkmcnt(0)
	v_mov_b32_e32 v7, s9
	v_add_co_u32_e32 v5, vcc, s8, v5
	v_addc_co_u32_e32 v6, vcc, v7, v6, vcc
	global_load_dwordx4 v[11:14], v[5:6], off glc slc
	v_lshlrev_b64 v[5:6], 3, v[9:10]
	v_mov_b32_e32 v7, s11
	v_add_co_u32_e32 v5, vcc, s10, v5
	v_addc_co_u32_e32 v6, vcc, v7, v6, vcc
	global_load_dwordx2 v[5:6], v[5:6], off glc slc
	v_mov_b32_e32 v9, s7
	s_waitcnt vmcnt(1)
	v_subrev_co_u32_e32 v7, vcc, s2, v13
	v_subbrev_co_u32_e32 v8, vcc, 0, v14, vcc
	v_lshlrev_b64 v[7:8], 4, v[7:8]
	v_add_co_u32_e32 v7, vcc, s6, v7
	v_addc_co_u32_e32 v8, vcc, v9, v8, vcc
	global_load_dwordx4 v[7:10], v[7:8], off
	s_waitcnt vmcnt(1)
	v_cvt_f64_f32_e32 v[13:14], v6
	v_cvt_f64_f32_e32 v[5:6], v5
	s_waitcnt vmcnt(0)
	v_mul_f64 v[15:16], v[9:10], -v[13:14]
	v_mul_f64 v[9:10], v[9:10], v[5:6]
	v_fma_f64 v[5:6], v[5:6], v[7:8], v[15:16]
	v_fma_f64 v[7:8], v[13:14], v[7:8], v[9:10]
	v_subrev_co_u32_e32 v13, vcc, s2, v11
	v_subbrev_co_u32_e32 v14, vcc, 0, v12, vcc
.LBB79_3:
	s_or_b64 exec, exec, s[0:1]
	v_lshlrev_b32_e32 v10, 3, v0
	v_or_b32_e32 v9, 0x1000, v10
	ds_write_b64 v10, v[13:14] offset:4096
	v_lshlrev_b32_e32 v10, 4, v0
	v_cmp_ne_u32_e32 vcc, 0, v0
	ds_write_b128 v10, v[5:8]
	s_waitcnt lgkmcnt(0)
	s_barrier
	s_and_saveexec_b64 s[0:1], vcc
	s_cbranch_execz .LBB79_7
; %bb.4:
	v_add_u32_e32 v11, -8, v9
	ds_read_b64 v[11:12], v11
	s_waitcnt lgkmcnt(0)
	v_cmp_eq_u64_e32 vcc, v[13:14], v[11:12]
	s_and_saveexec_b64 s[2:3], vcc
	s_cbranch_execz .LBB79_6
; %bb.5:
	v_add_u32_e32 v11, -16, v10
	ds_read_b128 v[15:18], v11
	s_waitcnt lgkmcnt(0)
	v_add_f64 v[5:6], v[5:6], v[15:16]
	v_add_f64 v[7:8], v[7:8], v[17:18]
.LBB79_6:
	s_or_b64 exec, exec, s[2:3]
.LBB79_7:
	s_or_b64 exec, exec, s[0:1]
	v_cmp_lt_u32_e32 vcc, 1, v0
	s_barrier
	ds_write_b128 v10, v[5:8]
	s_waitcnt lgkmcnt(0)
	s_barrier
	s_and_saveexec_b64 s[0:1], vcc
	s_cbranch_execz .LBB79_11
; %bb.8:
	v_add_u32_e32 v11, -16, v9
	ds_read_b64 v[11:12], v11
	s_waitcnt lgkmcnt(0)
	v_cmp_eq_u64_e32 vcc, v[13:14], v[11:12]
	s_and_saveexec_b64 s[2:3], vcc
	s_cbranch_execz .LBB79_10
; %bb.9:
	v_subrev_u32_e32 v11, 32, v10
	ds_read_b128 v[15:18], v11
	s_waitcnt lgkmcnt(0)
	v_add_f64 v[5:6], v[5:6], v[15:16]
	v_add_f64 v[7:8], v[7:8], v[17:18]
.LBB79_10:
	s_or_b64 exec, exec, s[2:3]
.LBB79_11:
	s_or_b64 exec, exec, s[0:1]
	v_cmp_lt_u32_e32 vcc, 3, v0
	s_barrier
	ds_write_b128 v10, v[5:8]
	s_waitcnt lgkmcnt(0)
	s_barrier
	s_and_saveexec_b64 s[0:1], vcc
	s_cbranch_execz .LBB79_15
; %bb.12:
	v_subrev_u32_e32 v11, 32, v9
	ds_read_b64 v[11:12], v11
	s_waitcnt lgkmcnt(0)
	v_cmp_eq_u64_e32 vcc, v[13:14], v[11:12]
	s_and_saveexec_b64 s[2:3], vcc
	s_cbranch_execz .LBB79_14
; %bb.13:
	v_subrev_u32_e32 v11, 64, v10
	ds_read_b128 v[15:18], v11
	s_waitcnt lgkmcnt(0)
	v_add_f64 v[5:6], v[5:6], v[15:16]
	v_add_f64 v[7:8], v[7:8], v[17:18]
.LBB79_14:
	s_or_b64 exec, exec, s[2:3]
.LBB79_15:
	s_or_b64 exec, exec, s[0:1]
	v_cmp_lt_u32_e32 vcc, 7, v0
	s_barrier
	ds_write_b128 v10, v[5:8]
	s_waitcnt lgkmcnt(0)
	s_barrier
	s_and_saveexec_b64 s[0:1], vcc
	s_cbranch_execz .LBB79_19
; %bb.16:
	v_subrev_u32_e32 v11, 64, v9
	ds_read_b64 v[11:12], v11
	s_waitcnt lgkmcnt(0)
	v_cmp_eq_u64_e32 vcc, v[13:14], v[11:12]
	s_and_saveexec_b64 s[2:3], vcc
	s_cbranch_execz .LBB79_18
; %bb.17:
	v_add_u32_e32 v11, 0xffffff80, v10
	ds_read_b128 v[15:18], v11
	s_waitcnt lgkmcnt(0)
	v_add_f64 v[5:6], v[5:6], v[15:16]
	v_add_f64 v[7:8], v[7:8], v[17:18]
.LBB79_18:
	s_or_b64 exec, exec, s[2:3]
.LBB79_19:
	s_or_b64 exec, exec, s[0:1]
	v_cmp_lt_u32_e32 vcc, 15, v0
	s_barrier
	ds_write_b128 v10, v[5:8]
	s_waitcnt lgkmcnt(0)
	s_barrier
	s_and_saveexec_b64 s[0:1], vcc
	s_cbranch_execz .LBB79_23
; %bb.20:
	v_add_u32_e32 v11, 0xffffff80, v9
	ds_read_b64 v[11:12], v11
	s_waitcnt lgkmcnt(0)
	v_cmp_eq_u64_e32 vcc, v[13:14], v[11:12]
	s_and_saveexec_b64 s[2:3], vcc
	s_cbranch_execz .LBB79_22
; %bb.21:
	v_add_u32_e32 v11, 0xffffff00, v10
	ds_read_b128 v[15:18], v11
	s_waitcnt lgkmcnt(0)
	v_add_f64 v[5:6], v[5:6], v[15:16]
	v_add_f64 v[7:8], v[7:8], v[17:18]
.LBB79_22:
	s_or_b64 exec, exec, s[2:3]
.LBB79_23:
	s_or_b64 exec, exec, s[0:1]
	v_cmp_lt_u32_e32 vcc, 31, v0
	s_barrier
	ds_write_b128 v10, v[5:8]
	s_waitcnt lgkmcnt(0)
	s_barrier
	s_and_saveexec_b64 s[0:1], vcc
	s_cbranch_execz .LBB79_27
; %bb.24:
	v_add_u32_e32 v11, 0xffffff00, v9
	ds_read_b64 v[11:12], v11
	s_waitcnt lgkmcnt(0)
	v_cmp_eq_u64_e32 vcc, v[13:14], v[11:12]
	s_and_saveexec_b64 s[2:3], vcc
	s_cbranch_execz .LBB79_26
; %bb.25:
	v_add_u32_e32 v11, 0xfffffe00, v10
	ds_read_b128 v[15:18], v11
	s_waitcnt lgkmcnt(0)
	v_add_f64 v[5:6], v[5:6], v[15:16]
	v_add_f64 v[7:8], v[7:8], v[17:18]
.LBB79_26:
	s_or_b64 exec, exec, s[2:3]
.LBB79_27:
	;; [unrolled: 24-line block ×3, first 2 shown]
	s_or_b64 exec, exec, s[0:1]
	s_load_dwordx2 s[2:3], s[4:5], 0x30
	s_movk_i32 s0, 0x7f
	v_cmp_lt_u32_e32 vcc, s0, v0
	s_waitcnt lgkmcnt(0)
	s_barrier
	ds_write_b128 v10, v[5:8]
	s_waitcnt lgkmcnt(0)
	s_barrier
	s_and_saveexec_b64 s[0:1], vcc
	s_cbranch_execz .LBB79_35
; %bb.32:
	v_add_u32_e32 v11, 0xfffffc00, v9
	ds_read_b64 v[11:12], v11
	s_waitcnt lgkmcnt(0)
	v_cmp_eq_u64_e32 vcc, v[13:14], v[11:12]
	s_and_saveexec_b64 s[4:5], vcc
	s_cbranch_execz .LBB79_34
; %bb.33:
	v_add_u32_e32 v11, 0xfffff800, v10
	ds_read_b128 v[15:18], v11
	s_waitcnt lgkmcnt(0)
	v_add_f64 v[5:6], v[5:6], v[15:16]
	v_add_f64 v[7:8], v[7:8], v[17:18]
.LBB79_34:
	s_or_b64 exec, exec, s[4:5]
.LBB79_35:
	s_or_b64 exec, exec, s[0:1]
	s_movk_i32 s6, 0xff
	v_cmp_gt_u32_e32 vcc, s6, v0
	s_barrier
	ds_write_b128 v10, v[5:8]
	s_waitcnt lgkmcnt(0)
	s_barrier
	s_and_saveexec_b64 s[4:5], vcc
	s_cbranch_execz .LBB79_41
; %bb.36:
	ds_read_b64 v[9:10], v9 offset:8
	v_cmp_lt_i64_e64 s[0:1], -1, v[13:14]
	s_waitcnt lgkmcnt(0)
	v_cmp_ne_u64_e32 vcc, v[13:14], v[9:10]
	s_and_b64 s[0:1], s[0:1], vcc
	s_and_b64 exec, exec, s[0:1]
	s_cbranch_execz .LBB79_41
; %bb.37:
	v_lshlrev_b64 v[9:10], 4, v[13:14]
	v_mov_b32_e32 v11, s3
	v_add_co_u32_e32 v15, vcc, s2, v9
	v_addc_co_u32_e32 v16, vcc, v11, v10, vcc
	global_load_dwordx2 v[11:12], v[15:16], off
	v_mul_f64 v[9:10], v[7:8], -v[3:4]
	s_mov_b64 s[0:1], 0
	v_fma_f64 v[17:18], v[1:2], v[5:6], v[9:10]
.LBB79_38:                              ; =>This Inner Loop Header: Depth=1
	s_waitcnt vmcnt(0)
	v_add_f64 v[9:10], v[11:12], v[17:18]
	global_atomic_cmpswap_x2 v[9:10], v[15:16], v[9:12], off glc
	s_waitcnt vmcnt(0)
	v_cmp_eq_u64_e32 vcc, v[9:10], v[11:12]
	v_mov_b32_e32 v12, v10
	s_or_b64 s[0:1], vcc, s[0:1]
	v_mov_b32_e32 v11, v9
	s_andn2_b64 exec, exec, s[0:1]
	s_cbranch_execnz .LBB79_38
; %bb.39:
	s_or_b64 exec, exec, s[0:1]
	global_load_dwordx2 v[11:12], v[15:16], off offset:8
	v_mul_f64 v[9:10], v[1:2], v[7:8]
	s_mov_b64 s[0:1], 0
	v_fma_f64 v[17:18], v[3:4], v[5:6], v[9:10]
.LBB79_40:                              ; =>This Inner Loop Header: Depth=1
	s_waitcnt vmcnt(0)
	v_add_f64 v[9:10], v[11:12], v[17:18]
	global_atomic_cmpswap_x2 v[9:10], v[15:16], v[9:12], off offset:8 glc
	s_waitcnt vmcnt(0)
	v_cmp_eq_u64_e32 vcc, v[9:10], v[11:12]
	v_mov_b32_e32 v12, v10
	s_or_b64 s[0:1], vcc, s[0:1]
	v_mov_b32_e32 v11, v9
	s_andn2_b64 exec, exec, s[0:1]
	s_cbranch_execnz .LBB79_40
.LBB79_41:
	s_or_b64 exec, exec, s[4:5]
	v_cmp_lt_i64_e32 vcc, -1, v[13:14]
	v_cmp_eq_u32_e64 s[0:1], s6, v0
	s_and_b64 s[0:1], s[0:1], vcc
	s_and_b64 exec, exec, s[0:1]
	s_cbranch_execz .LBB79_46
; %bb.42:
	v_lshlrev_b64 v[9:10], 4, v[13:14]
	v_mov_b32_e32 v0, s3
	v_add_co_u32_e32 v13, vcc, s2, v9
	v_addc_co_u32_e32 v14, vcc, v0, v10, vcc
	global_load_dwordx2 v[11:12], v[13:14], off
	v_mul_f64 v[9:10], v[7:8], -v[3:4]
	s_mov_b64 s[0:1], 0
	v_fma_f64 v[15:16], v[1:2], v[5:6], v[9:10]
.LBB79_43:                              ; =>This Inner Loop Header: Depth=1
	s_waitcnt vmcnt(0)
	v_add_f64 v[9:10], v[11:12], v[15:16]
	global_atomic_cmpswap_x2 v[9:10], v[13:14], v[9:12], off glc
	s_waitcnt vmcnt(0)
	v_cmp_eq_u64_e32 vcc, v[9:10], v[11:12]
	v_mov_b32_e32 v12, v10
	s_or_b64 s[0:1], vcc, s[0:1]
	v_mov_b32_e32 v11, v9
	s_andn2_b64 exec, exec, s[0:1]
	s_cbranch_execnz .LBB79_43
; %bb.44:
	s_or_b64 exec, exec, s[0:1]
	global_load_dwordx2 v[9:10], v[13:14], off offset:8
	v_mul_f64 v[0:1], v[1:2], v[7:8]
	s_mov_b64 s[0:1], 0
	v_fma_f64 v[0:1], v[3:4], v[5:6], v[0:1]
.LBB79_45:                              ; =>This Inner Loop Header: Depth=1
	s_waitcnt vmcnt(0)
	v_add_f64 v[7:8], v[9:10], v[0:1]
	global_atomic_cmpswap_x2 v[2:3], v[13:14], v[7:10], off offset:8 glc
	s_waitcnt vmcnt(0)
	v_cmp_eq_u64_e32 vcc, v[2:3], v[9:10]
	v_mov_b32_e32 v10, v3
	s_or_b64 s[0:1], vcc, s[0:1]
	v_mov_b32_e32 v9, v2
	s_andn2_b64 exec, exec, s[0:1]
	s_cbranch_execnz .LBB79_45
.LBB79_46:
	s_endpgm
	.section	.rodata,"a",@progbits
	.p2align	6, 0x0
	.amdhsa_kernel _ZN9rocsparseL23coomvn_aos_atomic_loopsILj256ELj1El21rocsparse_complex_numIfES1_IdES3_S3_EEvlNS_24const_host_device_scalarIT5_EEPKT1_PKT2_PKT3_PT4_21rocsparse_index_base_b
		.amdhsa_group_segment_fixed_size 6144
		.amdhsa_private_segment_fixed_size 0
		.amdhsa_kernarg_size 64
		.amdhsa_user_sgpr_count 6
		.amdhsa_user_sgpr_private_segment_buffer 1
		.amdhsa_user_sgpr_dispatch_ptr 0
		.amdhsa_user_sgpr_queue_ptr 0
		.amdhsa_user_sgpr_kernarg_segment_ptr 1
		.amdhsa_user_sgpr_dispatch_id 0
		.amdhsa_user_sgpr_flat_scratch_init 0
		.amdhsa_user_sgpr_private_segment_size 0
		.amdhsa_uses_dynamic_stack 0
		.amdhsa_system_sgpr_private_segment_wavefront_offset 0
		.amdhsa_system_sgpr_workgroup_id_x 1
		.amdhsa_system_sgpr_workgroup_id_y 0
		.amdhsa_system_sgpr_workgroup_id_z 0
		.amdhsa_system_sgpr_workgroup_info 0
		.amdhsa_system_vgpr_workitem_id 0
		.amdhsa_next_free_vgpr 19
		.amdhsa_next_free_sgpr 12
		.amdhsa_reserve_vcc 1
		.amdhsa_reserve_flat_scratch 0
		.amdhsa_float_round_mode_32 0
		.amdhsa_float_round_mode_16_64 0
		.amdhsa_float_denorm_mode_32 3
		.amdhsa_float_denorm_mode_16_64 3
		.amdhsa_dx10_clamp 1
		.amdhsa_ieee_mode 1
		.amdhsa_fp16_overflow 0
		.amdhsa_exception_fp_ieee_invalid_op 0
		.amdhsa_exception_fp_denorm_src 0
		.amdhsa_exception_fp_ieee_div_zero 0
		.amdhsa_exception_fp_ieee_overflow 0
		.amdhsa_exception_fp_ieee_underflow 0
		.amdhsa_exception_fp_ieee_inexact 0
		.amdhsa_exception_int_div_zero 0
	.end_amdhsa_kernel
	.section	.text._ZN9rocsparseL23coomvn_aos_atomic_loopsILj256ELj1El21rocsparse_complex_numIfES1_IdES3_S3_EEvlNS_24const_host_device_scalarIT5_EEPKT1_PKT2_PKT3_PT4_21rocsparse_index_base_b,"axG",@progbits,_ZN9rocsparseL23coomvn_aos_atomic_loopsILj256ELj1El21rocsparse_complex_numIfES1_IdES3_S3_EEvlNS_24const_host_device_scalarIT5_EEPKT1_PKT2_PKT3_PT4_21rocsparse_index_base_b,comdat
.Lfunc_end79:
	.size	_ZN9rocsparseL23coomvn_aos_atomic_loopsILj256ELj1El21rocsparse_complex_numIfES1_IdES3_S3_EEvlNS_24const_host_device_scalarIT5_EEPKT1_PKT2_PKT3_PT4_21rocsparse_index_base_b, .Lfunc_end79-_ZN9rocsparseL23coomvn_aos_atomic_loopsILj256ELj1El21rocsparse_complex_numIfES1_IdES3_S3_EEvlNS_24const_host_device_scalarIT5_EEPKT1_PKT2_PKT3_PT4_21rocsparse_index_base_b
                                        ; -- End function
	.set _ZN9rocsparseL23coomvn_aos_atomic_loopsILj256ELj1El21rocsparse_complex_numIfES1_IdES3_S3_EEvlNS_24const_host_device_scalarIT5_EEPKT1_PKT2_PKT3_PT4_21rocsparse_index_base_b.num_vgpr, 19
	.set _ZN9rocsparseL23coomvn_aos_atomic_loopsILj256ELj1El21rocsparse_complex_numIfES1_IdES3_S3_EEvlNS_24const_host_device_scalarIT5_EEPKT1_PKT2_PKT3_PT4_21rocsparse_index_base_b.num_agpr, 0
	.set _ZN9rocsparseL23coomvn_aos_atomic_loopsILj256ELj1El21rocsparse_complex_numIfES1_IdES3_S3_EEvlNS_24const_host_device_scalarIT5_EEPKT1_PKT2_PKT3_PT4_21rocsparse_index_base_b.numbered_sgpr, 12
	.set _ZN9rocsparseL23coomvn_aos_atomic_loopsILj256ELj1El21rocsparse_complex_numIfES1_IdES3_S3_EEvlNS_24const_host_device_scalarIT5_EEPKT1_PKT2_PKT3_PT4_21rocsparse_index_base_b.num_named_barrier, 0
	.set _ZN9rocsparseL23coomvn_aos_atomic_loopsILj256ELj1El21rocsparse_complex_numIfES1_IdES3_S3_EEvlNS_24const_host_device_scalarIT5_EEPKT1_PKT2_PKT3_PT4_21rocsparse_index_base_b.private_seg_size, 0
	.set _ZN9rocsparseL23coomvn_aos_atomic_loopsILj256ELj1El21rocsparse_complex_numIfES1_IdES3_S3_EEvlNS_24const_host_device_scalarIT5_EEPKT1_PKT2_PKT3_PT4_21rocsparse_index_base_b.uses_vcc, 1
	.set _ZN9rocsparseL23coomvn_aos_atomic_loopsILj256ELj1El21rocsparse_complex_numIfES1_IdES3_S3_EEvlNS_24const_host_device_scalarIT5_EEPKT1_PKT2_PKT3_PT4_21rocsparse_index_base_b.uses_flat_scratch, 0
	.set _ZN9rocsparseL23coomvn_aos_atomic_loopsILj256ELj1El21rocsparse_complex_numIfES1_IdES3_S3_EEvlNS_24const_host_device_scalarIT5_EEPKT1_PKT2_PKT3_PT4_21rocsparse_index_base_b.has_dyn_sized_stack, 0
	.set _ZN9rocsparseL23coomvn_aos_atomic_loopsILj256ELj1El21rocsparse_complex_numIfES1_IdES3_S3_EEvlNS_24const_host_device_scalarIT5_EEPKT1_PKT2_PKT3_PT4_21rocsparse_index_base_b.has_recursion, 0
	.set _ZN9rocsparseL23coomvn_aos_atomic_loopsILj256ELj1El21rocsparse_complex_numIfES1_IdES3_S3_EEvlNS_24const_host_device_scalarIT5_EEPKT1_PKT2_PKT3_PT4_21rocsparse_index_base_b.has_indirect_call, 0
	.section	.AMDGPU.csdata,"",@progbits
; Kernel info:
; codeLenInByte = 1632
; TotalNumSgprs: 16
; NumVgprs: 19
; ScratchSize: 0
; MemoryBound: 0
; FloatMode: 240
; IeeeMode: 1
; LDSByteSize: 6144 bytes/workgroup (compile time only)
; SGPRBlocks: 1
; VGPRBlocks: 4
; NumSGPRsForWavesPerEU: 16
; NumVGPRsForWavesPerEU: 19
; Occupancy: 10
; WaveLimiterHint : 1
; COMPUTE_PGM_RSRC2:SCRATCH_EN: 0
; COMPUTE_PGM_RSRC2:USER_SGPR: 6
; COMPUTE_PGM_RSRC2:TRAP_HANDLER: 0
; COMPUTE_PGM_RSRC2:TGID_X_EN: 1
; COMPUTE_PGM_RSRC2:TGID_Y_EN: 0
; COMPUTE_PGM_RSRC2:TGID_Z_EN: 0
; COMPUTE_PGM_RSRC2:TIDIG_COMP_CNT: 0
	.section	.text._ZN9rocsparseL17coomvt_aos_kernelILj1024El21rocsparse_complex_numIfES1_IdES3_S3_EEv20rocsparse_operation_lNS_24const_host_device_scalarIT4_EEPKT0_PKT1_PKT2_PT3_21rocsparse_index_base_b,"axG",@progbits,_ZN9rocsparseL17coomvt_aos_kernelILj1024El21rocsparse_complex_numIfES1_IdES3_S3_EEv20rocsparse_operation_lNS_24const_host_device_scalarIT4_EEPKT0_PKT1_PKT2_PT3_21rocsparse_index_base_b,comdat
	.globl	_ZN9rocsparseL17coomvt_aos_kernelILj1024El21rocsparse_complex_numIfES1_IdES3_S3_EEv20rocsparse_operation_lNS_24const_host_device_scalarIT4_EEPKT0_PKT1_PKT2_PT3_21rocsparse_index_base_b ; -- Begin function _ZN9rocsparseL17coomvt_aos_kernelILj1024El21rocsparse_complex_numIfES1_IdES3_S3_EEv20rocsparse_operation_lNS_24const_host_device_scalarIT4_EEPKT0_PKT1_PKT2_PT3_21rocsparse_index_base_b
	.p2align	8
	.type	_ZN9rocsparseL17coomvt_aos_kernelILj1024El21rocsparse_complex_numIfES1_IdES3_S3_EEv20rocsparse_operation_lNS_24const_host_device_scalarIT4_EEPKT0_PKT1_PKT2_PT3_21rocsparse_index_base_b,@function
_ZN9rocsparseL17coomvt_aos_kernelILj1024El21rocsparse_complex_numIfES1_IdES3_S3_EEv20rocsparse_operation_lNS_24const_host_device_scalarIT4_EEPKT0_PKT1_PKT2_PT3_21rocsparse_index_base_b: ; @_ZN9rocsparseL17coomvt_aos_kernelILj1024El21rocsparse_complex_numIfES1_IdES3_S3_EEv20rocsparse_operation_lNS_24const_host_device_scalarIT4_EEPKT0_PKT1_PKT2_PT3_21rocsparse_index_base_b
; %bb.0:
	s_load_dwordx2 s[2:3], s[4:5], 0x40
	s_load_dwordx4 s[8:11], s[4:5], 0x8
	s_add_u32 s0, s4, 16
	s_addc_u32 s1, s5, 0
	s_waitcnt lgkmcnt(0)
	s_bitcmp1_b32 s3, 0
	s_cselect_b32 s1, s1, s11
	s_cselect_b32 s0, s0, s10
	v_mov_b32_e32 v1, s0
	v_mov_b32_e32 v2, s1
	flat_load_dwordx4 v[1:4], v[1:2]
	s_waitcnt vmcnt(0) lgkmcnt(0)
	v_cmp_neq_f64_e32 vcc, 0, v[1:2]
	v_cmp_neq_f64_e64 s[0:1], 0, v[3:4]
	s_or_b64 s[0:1], vcc, s[0:1]
	s_and_saveexec_b64 s[10:11], s[0:1]
	s_cbranch_execz .LBB80_6
; %bb.1:
	s_load_dword s0, s[4:5], 0x54
	v_mov_b32_e32 v6, 0
	s_waitcnt lgkmcnt(0)
	s_and_b32 s0, s0, 0xffff
	s_mul_i32 s6, s6, s0
	v_add_u32_e32 v5, s6, v0
	v_cmp_gt_i64_e32 vcc, s[8:9], v[5:6]
	s_and_b64 exec, exec, vcc
	s_cbranch_execz .LBB80_6
; %bb.2:
	s_load_dwordx8 s[8:15], s[4:5], 0x20
	v_lshlrev_b64 v[7:8], 4, v[5:6]
	v_lshlrev_b64 v[5:6], 3, v[5:6]
	s_load_dword s0, s[4:5], 0x0
	s_waitcnt lgkmcnt(0)
	v_mov_b32_e32 v0, s9
	v_add_co_u32_e32 v7, vcc, s8, v7
	v_addc_co_u32_e32 v8, vcc, v0, v8, vcc
	global_load_dwordx4 v[7:10], v[7:8], off
	v_mov_b32_e32 v0, s11
	v_add_co_u32_e32 v5, vcc, s10, v5
	v_addc_co_u32_e32 v6, vcc, v0, v6, vcc
	global_load_dwordx2 v[15:16], v[5:6], off
	v_mov_b32_e32 v0, s13
	s_cmpk_eq_i32 s0, 0x71
	s_cselect_b64 s[0:1], -1, 0
	s_waitcnt vmcnt(1)
	v_subrev_co_u32_e32 v5, vcc, s2, v7
	v_subbrev_co_u32_e32 v6, vcc, 0, v8, vcc
	v_lshlrev_b64 v[5:6], 4, v[5:6]
	v_add_co_u32_e32 v5, vcc, s12, v5
	v_addc_co_u32_e32 v6, vcc, v0, v6, vcc
	global_load_dwordx4 v[5:8], v[5:6], off
	v_subrev_co_u32_e32 v9, vcc, s2, v9
	v_subbrev_co_u32_e32 v10, vcc, 0, v10, vcc
	v_lshlrev_b64 v[9:10], 4, v[9:10]
	v_mov_b32_e32 v0, s15
	v_add_co_u32_e32 v13, vcc, s14, v9
	v_addc_co_u32_e32 v14, vcc, v0, v10, vcc
	global_load_dwordx2 v[11:12], v[13:14], off
	s_waitcnt vmcnt(2)
	v_cndmask_b32_e64 v0, v16, -v16, s[0:1]
	v_cvt_f64_f32_e32 v[9:10], v0
	v_cvt_f64_f32_e32 v[18:19], v15
	s_mov_b64 s[0:1], 0
	v_mul_f64 v[16:17], v[1:2], v[9:10]
	v_mul_f64 v[9:10], -v[3:4], v[9:10]
	v_fma_f64 v[15:16], v[3:4], v[18:19], v[16:17]
	v_fma_f64 v[0:1], v[1:2], v[18:19], v[9:10]
	s_waitcnt vmcnt(1)
	v_mul_f64 v[2:3], v[7:8], -v[15:16]
	v_fma_f64 v[2:3], v[0:1], v[5:6], v[2:3]
.LBB80_3:                               ; =>This Inner Loop Header: Depth=1
	s_waitcnt vmcnt(0)
	v_add_f64 v[9:10], v[11:12], v[2:3]
	global_atomic_cmpswap_x2 v[9:10], v[13:14], v[9:12], off glc
	s_waitcnt vmcnt(0)
	v_cmp_eq_u64_e32 vcc, v[9:10], v[11:12]
	v_mov_b32_e32 v12, v10
	s_or_b64 s[0:1], vcc, s[0:1]
	v_mov_b32_e32 v11, v9
	s_andn2_b64 exec, exec, s[0:1]
	s_cbranch_execnz .LBB80_3
; %bb.4:
	s_or_b64 exec, exec, s[0:1]
	global_load_dwordx2 v[2:3], v[13:14], off offset:8
	v_mul_f64 v[0:1], v[7:8], v[0:1]
	s_mov_b64 s[0:1], 0
	v_fma_f64 v[4:5], v[15:16], v[5:6], v[0:1]
.LBB80_5:                               ; =>This Inner Loop Header: Depth=1
	s_waitcnt vmcnt(0)
	v_add_f64 v[0:1], v[2:3], v[4:5]
	global_atomic_cmpswap_x2 v[0:1], v[13:14], v[0:3], off offset:8 glc
	s_waitcnt vmcnt(0)
	v_cmp_eq_u64_e32 vcc, v[0:1], v[2:3]
	v_mov_b32_e32 v3, v1
	s_or_b64 s[0:1], vcc, s[0:1]
	v_mov_b32_e32 v2, v0
	s_andn2_b64 exec, exec, s[0:1]
	s_cbranch_execnz .LBB80_5
.LBB80_6:
	s_endpgm
	.section	.rodata,"a",@progbits
	.p2align	6, 0x0
	.amdhsa_kernel _ZN9rocsparseL17coomvt_aos_kernelILj1024El21rocsparse_complex_numIfES1_IdES3_S3_EEv20rocsparse_operation_lNS_24const_host_device_scalarIT4_EEPKT0_PKT1_PKT2_PT3_21rocsparse_index_base_b
		.amdhsa_group_segment_fixed_size 0
		.amdhsa_private_segment_fixed_size 0
		.amdhsa_kernarg_size 328
		.amdhsa_user_sgpr_count 6
		.amdhsa_user_sgpr_private_segment_buffer 1
		.amdhsa_user_sgpr_dispatch_ptr 0
		.amdhsa_user_sgpr_queue_ptr 0
		.amdhsa_user_sgpr_kernarg_segment_ptr 1
		.amdhsa_user_sgpr_dispatch_id 0
		.amdhsa_user_sgpr_flat_scratch_init 0
		.amdhsa_user_sgpr_private_segment_size 0
		.amdhsa_uses_dynamic_stack 0
		.amdhsa_system_sgpr_private_segment_wavefront_offset 0
		.amdhsa_system_sgpr_workgroup_id_x 1
		.amdhsa_system_sgpr_workgroup_id_y 0
		.amdhsa_system_sgpr_workgroup_id_z 0
		.amdhsa_system_sgpr_workgroup_info 0
		.amdhsa_system_vgpr_workitem_id 0
		.amdhsa_next_free_vgpr 20
		.amdhsa_next_free_sgpr 16
		.amdhsa_reserve_vcc 1
		.amdhsa_reserve_flat_scratch 0
		.amdhsa_float_round_mode_32 0
		.amdhsa_float_round_mode_16_64 0
		.amdhsa_float_denorm_mode_32 3
		.amdhsa_float_denorm_mode_16_64 3
		.amdhsa_dx10_clamp 1
		.amdhsa_ieee_mode 1
		.amdhsa_fp16_overflow 0
		.amdhsa_exception_fp_ieee_invalid_op 0
		.amdhsa_exception_fp_denorm_src 0
		.amdhsa_exception_fp_ieee_div_zero 0
		.amdhsa_exception_fp_ieee_overflow 0
		.amdhsa_exception_fp_ieee_underflow 0
		.amdhsa_exception_fp_ieee_inexact 0
		.amdhsa_exception_int_div_zero 0
	.end_amdhsa_kernel
	.section	.text._ZN9rocsparseL17coomvt_aos_kernelILj1024El21rocsparse_complex_numIfES1_IdES3_S3_EEv20rocsparse_operation_lNS_24const_host_device_scalarIT4_EEPKT0_PKT1_PKT2_PT3_21rocsparse_index_base_b,"axG",@progbits,_ZN9rocsparseL17coomvt_aos_kernelILj1024El21rocsparse_complex_numIfES1_IdES3_S3_EEv20rocsparse_operation_lNS_24const_host_device_scalarIT4_EEPKT0_PKT1_PKT2_PT3_21rocsparse_index_base_b,comdat
.Lfunc_end80:
	.size	_ZN9rocsparseL17coomvt_aos_kernelILj1024El21rocsparse_complex_numIfES1_IdES3_S3_EEv20rocsparse_operation_lNS_24const_host_device_scalarIT4_EEPKT0_PKT1_PKT2_PT3_21rocsparse_index_base_b, .Lfunc_end80-_ZN9rocsparseL17coomvt_aos_kernelILj1024El21rocsparse_complex_numIfES1_IdES3_S3_EEv20rocsparse_operation_lNS_24const_host_device_scalarIT4_EEPKT0_PKT1_PKT2_PT3_21rocsparse_index_base_b
                                        ; -- End function
	.set _ZN9rocsparseL17coomvt_aos_kernelILj1024El21rocsparse_complex_numIfES1_IdES3_S3_EEv20rocsparse_operation_lNS_24const_host_device_scalarIT4_EEPKT0_PKT1_PKT2_PT3_21rocsparse_index_base_b.num_vgpr, 20
	.set _ZN9rocsparseL17coomvt_aos_kernelILj1024El21rocsparse_complex_numIfES1_IdES3_S3_EEv20rocsparse_operation_lNS_24const_host_device_scalarIT4_EEPKT0_PKT1_PKT2_PT3_21rocsparse_index_base_b.num_agpr, 0
	.set _ZN9rocsparseL17coomvt_aos_kernelILj1024El21rocsparse_complex_numIfES1_IdES3_S3_EEv20rocsparse_operation_lNS_24const_host_device_scalarIT4_EEPKT0_PKT1_PKT2_PT3_21rocsparse_index_base_b.numbered_sgpr, 16
	.set _ZN9rocsparseL17coomvt_aos_kernelILj1024El21rocsparse_complex_numIfES1_IdES3_S3_EEv20rocsparse_operation_lNS_24const_host_device_scalarIT4_EEPKT0_PKT1_PKT2_PT3_21rocsparse_index_base_b.num_named_barrier, 0
	.set _ZN9rocsparseL17coomvt_aos_kernelILj1024El21rocsparse_complex_numIfES1_IdES3_S3_EEv20rocsparse_operation_lNS_24const_host_device_scalarIT4_EEPKT0_PKT1_PKT2_PT3_21rocsparse_index_base_b.private_seg_size, 0
	.set _ZN9rocsparseL17coomvt_aos_kernelILj1024El21rocsparse_complex_numIfES1_IdES3_S3_EEv20rocsparse_operation_lNS_24const_host_device_scalarIT4_EEPKT0_PKT1_PKT2_PT3_21rocsparse_index_base_b.uses_vcc, 1
	.set _ZN9rocsparseL17coomvt_aos_kernelILj1024El21rocsparse_complex_numIfES1_IdES3_S3_EEv20rocsparse_operation_lNS_24const_host_device_scalarIT4_EEPKT0_PKT1_PKT2_PT3_21rocsparse_index_base_b.uses_flat_scratch, 0
	.set _ZN9rocsparseL17coomvt_aos_kernelILj1024El21rocsparse_complex_numIfES1_IdES3_S3_EEv20rocsparse_operation_lNS_24const_host_device_scalarIT4_EEPKT0_PKT1_PKT2_PT3_21rocsparse_index_base_b.has_dyn_sized_stack, 0
	.set _ZN9rocsparseL17coomvt_aos_kernelILj1024El21rocsparse_complex_numIfES1_IdES3_S3_EEv20rocsparse_operation_lNS_24const_host_device_scalarIT4_EEPKT0_PKT1_PKT2_PT3_21rocsparse_index_base_b.has_recursion, 0
	.set _ZN9rocsparseL17coomvt_aos_kernelILj1024El21rocsparse_complex_numIfES1_IdES3_S3_EEv20rocsparse_operation_lNS_24const_host_device_scalarIT4_EEPKT0_PKT1_PKT2_PT3_21rocsparse_index_base_b.has_indirect_call, 0
	.section	.AMDGPU.csdata,"",@progbits
; Kernel info:
; codeLenInByte = 496
; TotalNumSgprs: 20
; NumVgprs: 20
; ScratchSize: 0
; MemoryBound: 0
; FloatMode: 240
; IeeeMode: 1
; LDSByteSize: 0 bytes/workgroup (compile time only)
; SGPRBlocks: 2
; VGPRBlocks: 4
; NumSGPRsForWavesPerEU: 20
; NumVGPRsForWavesPerEU: 20
; Occupancy: 10
; WaveLimiterHint : 1
; COMPUTE_PGM_RSRC2:SCRATCH_EN: 0
; COMPUTE_PGM_RSRC2:USER_SGPR: 6
; COMPUTE_PGM_RSRC2:TRAP_HANDLER: 0
; COMPUTE_PGM_RSRC2:TGID_X_EN: 1
; COMPUTE_PGM_RSRC2:TGID_Y_EN: 0
; COMPUTE_PGM_RSRC2:TGID_Z_EN: 0
; COMPUTE_PGM_RSRC2:TIDIG_COMP_CNT: 0
	.section	.text._ZN9rocsparseL26coomvn_aos_segmented_loopsILj256El21rocsparse_complex_numIfES1_IdES3_S3_EEvlT0_NS_24const_host_device_scalarIT4_EEPKS4_PKT1_PKT2_PT3_PS4_PS6_21rocsparse_index_base_b,"axG",@progbits,_ZN9rocsparseL26coomvn_aos_segmented_loopsILj256El21rocsparse_complex_numIfES1_IdES3_S3_EEvlT0_NS_24const_host_device_scalarIT4_EEPKS4_PKT1_PKT2_PT3_PS4_PS6_21rocsparse_index_base_b,comdat
	.globl	_ZN9rocsparseL26coomvn_aos_segmented_loopsILj256El21rocsparse_complex_numIfES1_IdES3_S3_EEvlT0_NS_24const_host_device_scalarIT4_EEPKS4_PKT1_PKT2_PT3_PS4_PS6_21rocsparse_index_base_b ; -- Begin function _ZN9rocsparseL26coomvn_aos_segmented_loopsILj256El21rocsparse_complex_numIfES1_IdES3_S3_EEvlT0_NS_24const_host_device_scalarIT4_EEPKS4_PKT1_PKT2_PT3_PS4_PS6_21rocsparse_index_base_b
	.p2align	8
	.type	_ZN9rocsparseL26coomvn_aos_segmented_loopsILj256El21rocsparse_complex_numIfES1_IdES3_S3_EEvlT0_NS_24const_host_device_scalarIT4_EEPKS4_PKT1_PKT2_PT3_PS4_PS6_21rocsparse_index_base_b,@function
_ZN9rocsparseL26coomvn_aos_segmented_loopsILj256El21rocsparse_complex_numIfES1_IdES3_S3_EEvlT0_NS_24const_host_device_scalarIT4_EEPKS4_PKT1_PKT2_PT3_PS4_PS6_21rocsparse_index_base_b: ; @_ZN9rocsparseL26coomvn_aos_segmented_loopsILj256El21rocsparse_complex_numIfES1_IdES3_S3_EEvlT0_NS_24const_host_device_scalarIT4_EEPKS4_PKT1_PKT2_PT3_PS4_PS6_21rocsparse_index_base_b
; %bb.0:
	s_load_dwordx2 s[34:35], s[4:5], 0x50
	s_load_dwordx2 s[0:1], s[4:5], 0x10
	s_add_u32 s2, s4, 16
	s_addc_u32 s3, s5, 0
	s_waitcnt lgkmcnt(0)
	s_bitcmp1_b32 s35, 0
	s_cselect_b32 s1, s3, s1
	s_cselect_b32 s0, s2, s0
	v_mov_b32_e32 v1, s0
	v_mov_b32_e32 v2, s1
	flat_load_dwordx4 v[1:4], v[1:2]
	s_waitcnt vmcnt(0) lgkmcnt(0)
	v_cmp_neq_f64_e32 vcc, 0, v[1:2]
	v_cmp_neq_f64_e64 s[0:1], 0, v[3:4]
	s_or_b64 s[0:1], vcc, s[0:1]
	s_and_saveexec_b64 s[2:3], s[0:1]
	s_cbranch_execz .LBB81_87
; %bb.1:
	s_load_dwordx4 s[28:31], s[4:5], 0x0
	s_load_dwordx4 s[36:39], s[4:5], 0x20
	s_load_dwordx2 s[44:45], s[4:5], 0x30
	v_mov_b32_e32 v5, 0
	v_mov_b32_e32 v6, 0
	s_waitcnt lgkmcnt(0)
	s_mul_i32 s0, s6, s31
	s_mul_hi_u32 s1, s6, s30
	s_add_i32 s1, s1, s0
	s_mul_i32 s0, s6, s30
	s_lshl_b64 s[0:1], s[0:1], 8
	v_or_b32_e32 v15, s0, v0
	v_mov_b32_e32 v16, s1
	v_cmp_gt_i64_e32 vcc, s[28:29], v[15:16]
	v_mov_b32_e32 v9, -1
	v_mov_b32_e32 v8, v6
	s_mov_b32 s7, 0
	v_mov_b32_e32 v10, -1
	v_mov_b32_e32 v7, v5
	s_and_saveexec_b64 s[0:1], vcc
	s_cbranch_execz .LBB81_3
; %bb.2:
	v_lshlrev_b64 v[5:6], 4, v[15:16]
	v_mov_b32_e32 v7, s37
	v_add_co_u32_e32 v5, vcc, s36, v5
	v_addc_co_u32_e32 v6, vcc, v7, v6, vcc
	global_load_dwordx4 v[9:12], v[5:6], off glc slc
	v_lshlrev_b64 v[5:6], 3, v[15:16]
	v_mov_b32_e32 v7, s39
	v_add_co_u32_e32 v5, vcc, s38, v5
	v_addc_co_u32_e32 v6, vcc, v7, v6, vcc
	v_mov_b32_e32 v13, s45
	s_ashr_i32 s35, s34, 31
	global_load_dwordx2 v[5:6], v[5:6], off glc slc
	s_lshl_b64 s[2:3], s[34:35], 4
	v_mov_b32_e32 v14, s3
	s_waitcnt vmcnt(1)
	v_lshlrev_b64 v[7:8], 4, v[11:12]
	v_add_co_u32_e32 v7, vcc, s44, v7
	v_addc_co_u32_e32 v8, vcc, v13, v8, vcc
	v_subrev_co_u32_e32 v7, vcc, s2, v7
	v_subb_co_u32_e32 v8, vcc, v8, v14, vcc
	global_load_dwordx4 v[11:14], v[7:8], off
	s_waitcnt vmcnt(1)
	v_cvt_f64_f32_e32 v[7:8], v6
	v_cvt_f64_f32_e32 v[5:6], v5
	v_subrev_co_u32_e32 v9, vcc, s34, v9
	v_subbrev_co_u32_e32 v10, vcc, 0, v10, vcc
	s_waitcnt vmcnt(0)
	v_mul_f64 v[17:18], v[13:14], -v[7:8]
	v_mul_f64 v[13:14], v[13:14], v[5:6]
	v_fma_f64 v[5:6], v[5:6], v[11:12], v[17:18]
	v_fma_f64 v[7:8], v[7:8], v[11:12], v[13:14]
.LBB81_3:
	s_or_b64 exec, exec, s[0:1]
	v_lshlrev_b32_e32 v11, 3, v0
	v_or_b32_e32 v19, 0x1000, v11
	v_lshlrev_b32_e32 v20, 4, v0
	v_cmp_eq_u32_e64 s[0:1], 0, v0
	v_cmp_ne_u32_e64 s[2:3], 0, v0
	v_add_u32_e32 v21, -8, v19
	ds_write_b64 v11, v[9:10] offset:4096
	ds_write_b128 v20, v[5:8]
	s_waitcnt lgkmcnt(0)
	s_barrier
	s_and_saveexec_b64 s[8:9], s[2:3]
	s_cbranch_execz .LBB81_7
; %bb.4:
	ds_read_b64 v[12:13], v21
	s_waitcnt lgkmcnt(0)
	v_cmp_eq_u64_e32 vcc, v[9:10], v[12:13]
	s_and_saveexec_b64 s[10:11], vcc
	s_cbranch_execz .LBB81_6
; %bb.5:
	v_add_u32_e32 v12, -16, v20
	ds_read_b128 v[22:25], v12
	s_waitcnt lgkmcnt(0)
	v_add_f64 v[5:6], v[5:6], v[22:23]
	v_add_f64 v[7:8], v[7:8], v[24:25]
.LBB81_6:
	s_or_b64 exec, exec, s[10:11]
.LBB81_7:
	s_or_b64 exec, exec, s[8:9]
	v_cmp_lt_u32_e64 s[22:23], 1, v0
	v_add_u32_e32 v22, -16, v19
	s_barrier
	ds_write_b128 v20, v[5:8]
	s_waitcnt lgkmcnt(0)
	s_barrier
	s_and_saveexec_b64 s[8:9], s[22:23]
	s_cbranch_execz .LBB81_11
; %bb.8:
	ds_read_b64 v[12:13], v22
	s_waitcnt lgkmcnt(0)
	v_cmp_eq_u64_e32 vcc, v[9:10], v[12:13]
	s_and_saveexec_b64 s[10:11], vcc
	s_cbranch_execz .LBB81_10
; %bb.9:
	v_subrev_u32_e32 v12, 32, v20
	ds_read_b128 v[23:26], v12
	s_waitcnt lgkmcnt(0)
	v_add_f64 v[5:6], v[5:6], v[23:24]
	v_add_f64 v[7:8], v[7:8], v[25:26]
.LBB81_10:
	s_or_b64 exec, exec, s[10:11]
.LBB81_11:
	s_or_b64 exec, exec, s[8:9]
	v_cmp_lt_u32_e64 s[8:9], 3, v0
	v_subrev_u32_e32 v23, 32, v19
	s_barrier
	ds_write_b128 v20, v[5:8]
	s_waitcnt lgkmcnt(0)
	s_barrier
	s_and_saveexec_b64 s[10:11], s[8:9]
	s_cbranch_execz .LBB81_15
; %bb.12:
	ds_read_b64 v[12:13], v23
	s_waitcnt lgkmcnt(0)
	v_cmp_eq_u64_e32 vcc, v[9:10], v[12:13]
	s_and_saveexec_b64 s[12:13], vcc
	s_cbranch_execz .LBB81_14
; %bb.13:
	v_subrev_u32_e32 v12, 64, v20
	ds_read_b128 v[24:27], v12
	s_waitcnt lgkmcnt(0)
	v_add_f64 v[5:6], v[5:6], v[24:25]
	v_add_f64 v[7:8], v[7:8], v[26:27]
.LBB81_14:
	s_or_b64 exec, exec, s[12:13]
.LBB81_15:
	s_or_b64 exec, exec, s[10:11]
	v_cmp_lt_u32_e64 s[10:11], 7, v0
	v_subrev_u32_e32 v24, 64, v19
	s_barrier
	ds_write_b128 v20, v[5:8]
	s_waitcnt lgkmcnt(0)
	s_barrier
	s_and_saveexec_b64 s[12:13], s[10:11]
	s_cbranch_execz .LBB81_19
; %bb.16:
	ds_read_b64 v[12:13], v24
	s_waitcnt lgkmcnt(0)
	v_cmp_eq_u64_e32 vcc, v[9:10], v[12:13]
	s_and_saveexec_b64 s[14:15], vcc
	s_cbranch_execz .LBB81_18
; %bb.17:
	v_add_u32_e32 v12, 0xffffff80, v20
	ds_read_b128 v[25:28], v12
	s_waitcnt lgkmcnt(0)
	v_add_f64 v[5:6], v[5:6], v[25:26]
	v_add_f64 v[7:8], v[7:8], v[27:28]
.LBB81_18:
	s_or_b64 exec, exec, s[14:15]
.LBB81_19:
	s_or_b64 exec, exec, s[12:13]
	v_cmp_lt_u32_e64 s[12:13], 15, v0
	s_barrier
	ds_write_b128 v20, v[5:8]
	s_waitcnt lgkmcnt(0)
	s_barrier
	s_and_saveexec_b64 s[14:15], s[12:13]
	s_cbranch_execz .LBB81_23
; %bb.20:
	v_add_u32_e32 v12, 0xffffff80, v19
	ds_read_b64 v[12:13], v12
	s_waitcnt lgkmcnt(0)
	v_cmp_eq_u64_e32 vcc, v[9:10], v[12:13]
	s_and_saveexec_b64 s[16:17], vcc
	s_cbranch_execz .LBB81_22
; %bb.21:
	v_add_u32_e32 v12, 0xffffff00, v20
	ds_read_b128 v[25:28], v12
	s_waitcnt lgkmcnt(0)
	v_add_f64 v[5:6], v[5:6], v[25:26]
	v_add_f64 v[7:8], v[7:8], v[27:28]
.LBB81_22:
	s_or_b64 exec, exec, s[16:17]
.LBB81_23:
	s_or_b64 exec, exec, s[14:15]
	v_cmp_lt_u32_e64 s[14:15], 31, v0
	s_barrier
	ds_write_b128 v20, v[5:8]
	s_waitcnt lgkmcnt(0)
	s_barrier
	s_and_saveexec_b64 s[16:17], s[14:15]
	s_cbranch_execz .LBB81_27
; %bb.24:
	v_add_u32_e32 v12, 0xffffff00, v19
	ds_read_b64 v[12:13], v12
	s_waitcnt lgkmcnt(0)
	v_cmp_eq_u64_e32 vcc, v[9:10], v[12:13]
	s_and_saveexec_b64 s[18:19], vcc
	s_cbranch_execz .LBB81_26
; %bb.25:
	v_add_u32_e32 v12, 0xfffffe00, v20
	ds_read_b128 v[25:28], v12
	s_waitcnt lgkmcnt(0)
	v_add_f64 v[5:6], v[5:6], v[25:26]
	v_add_f64 v[7:8], v[7:8], v[27:28]
.LBB81_26:
	s_or_b64 exec, exec, s[18:19]
.LBB81_27:
	;; [unrolled: 24-line block ×3, first 2 shown]
	s_or_b64 exec, exec, s[18:19]
	s_load_dwordx2 s[40:41], s[4:5], 0x38
	s_movk_i32 s18, 0x7f
	v_cmp_lt_u32_e64 s[18:19], s18, v0
	s_waitcnt lgkmcnt(0)
	s_barrier
	ds_write_b128 v20, v[5:8]
	s_waitcnt lgkmcnt(0)
	s_barrier
	s_and_saveexec_b64 s[20:21], s[18:19]
	s_cbranch_execz .LBB81_35
; %bb.32:
	v_add_u32_e32 v12, 0xfffffc00, v19
	ds_read_b64 v[12:13], v12
	s_waitcnt lgkmcnt(0)
	v_cmp_eq_u64_e32 vcc, v[9:10], v[12:13]
	s_and_saveexec_b64 s[24:25], vcc
	s_cbranch_execz .LBB81_34
; %bb.33:
	v_add_u32_e32 v12, 0xfffff800, v20
	ds_read_b128 v[25:28], v12
	s_waitcnt lgkmcnt(0)
	v_add_f64 v[5:6], v[5:6], v[25:26]
	v_add_f64 v[7:8], v[7:8], v[27:28]
.LBB81_34:
	s_or_b64 exec, exec, s[24:25]
.LBB81_35:
	s_or_b64 exec, exec, s[20:21]
	s_movk_i32 s20, 0xff
	v_cmp_gt_u32_e64 s[20:21], s20, v0
	s_barrier
	ds_write_b128 v20, v[5:8]
	s_waitcnt lgkmcnt(0)
	s_barrier
	s_and_saveexec_b64 s[26:27], s[20:21]
	s_cbranch_execz .LBB81_38
; %bb.36:
	ds_read_b64 v[12:13], v19 offset:8
	v_cmp_lt_i64_e64 s[24:25], -1, v[9:10]
	s_waitcnt lgkmcnt(0)
	v_cmp_ne_u64_e32 vcc, v[9:10], v[12:13]
	s_and_b64 s[24:25], s[24:25], vcc
	s_and_b64 exec, exec, s[24:25]
	s_cbranch_execz .LBB81_38
; %bb.37:
	v_lshlrev_b64 v[12:13], 4, v[9:10]
	v_mov_b32_e32 v14, s41
	v_add_co_u32_e32 v12, vcc, s40, v12
	v_addc_co_u32_e32 v13, vcc, v14, v13, vcc
	global_load_dwordx4 v[25:28], v[12:13], off
	s_waitcnt vmcnt(0)
	v_fma_f64 v[17:18], v[1:2], v[5:6], v[25:26]
	v_fma_f64 v[27:28], v[3:4], v[5:6], v[27:28]
	v_fma_f64 v[25:26], -v[3:4], v[7:8], v[17:18]
	v_fma_f64 v[27:28], v[1:2], v[7:8], v[27:28]
	global_store_dwordx4 v[12:13], v[25:28], off
.LBB81_38:
	s_or_b64 exec, exec, s[26:27]
	s_load_dwordx4 s[24:27], s[4:5], 0x40
	v_cmp_lt_i64_e64 s[4:5], s[30:31], 2
	s_and_b64 vcc, exec, s[4:5]
	s_cbranch_vccnz .LBB81_85
; %bb.39:
	s_add_u32 s42, s30, -1
	s_addc_u32 s43, s31, -1
	s_ashr_i32 s35, s34, 31
	s_lshl_b64 s[4:5], s[34:35], 4
	s_sub_u32 s33, s44, s4
	s_subb_u32 s35, s45, s5
	s_mul_i32 s4, s31, s6
	s_mul_hi_u32 s5, s30, s6
	s_add_i32 s5, s5, s4
	s_mul_i32 s4, s30, s6
	s_lshl_b64 s[30:31], s[4:5], 11
	s_add_u32 s30, s38, s30
	s_addc_u32 s31, s39, s31
	v_mov_b32_e32 v5, s31
	v_add_co_u32_e32 v6, vcc, s30, v11
	v_addc_co_u32_e32 v5, vcc, 0, v5, vcc
	s_movk_i32 s30, 0x804
	s_lshl_b64 s[4:5], s[4:5], 12
	v_add_co_u32_e32 v11, vcc, s30, v6
	s_add_u32 s4, s36, s4
	v_addc_co_u32_e32 v12, vcc, 0, v5, vcc
	s_addc_u32 s5, s37, s5
	v_mov_b32_e32 v5, s5
	v_add_co_u32_e32 v6, vcc, s4, v20
	v_addc_co_u32_e32 v5, vcc, 0, v5, vcc
	s_movk_i32 s4, 0x1008
	v_add_co_u32_e32 v13, vcc, s4, v6
	v_addc_co_u32_e32 v14, vcc, 0, v5, vcc
	s_movk_i32 s4, 0x100
	v_add_co_u32_e32 v15, vcc, s4, v15
	v_add_u32_e32 v25, 0xfffffe00, v19
	v_add_u32_e32 v26, 0xfffffc00, v20
	;; [unrolled: 1-line block ×4, first 2 shown]
	v_mov_b32_e32 v29, 0
	v_addc_co_u32_e32 v16, vcc, 0, v16, vcc
	s_mov_b64 s[30:31], 0
	s_branch .LBB81_41
.LBB81_40:                              ;   in Loop: Header=BB81_41 Depth=1
	s_or_b64 exec, exec, s[36:37]
	v_add_co_u32_e32 v11, vcc, 0x800, v11
	v_addc_co_u32_e32 v12, vcc, 0, v12, vcc
	s_add_u32 s30, s30, 1
	v_add_co_u32_e32 v13, vcc, 0x1000, v13
	s_addc_u32 s31, s31, 0
	v_mov_b32_e32 v17, s30
	v_addc_co_u32_e32 v14, vcc, 0, v14, vcc
	v_mov_b32_e32 v18, s31
	v_add_co_u32_e32 v15, vcc, 0x100, v15
	v_cmp_le_u64_e64 s[4:5], s[42:43], v[17:18]
	v_addc_co_u32_e32 v16, vcc, 0, v16, vcc
	s_and_b64 vcc, exec, s[4:5]
	s_cbranch_vccnz .LBB81_85
.LBB81_41:                              ; =>This Inner Loop Header: Depth=1
	v_cmp_gt_i64_e32 vcc, s[28:29], v[15:16]
	v_mov_b32_e32 v9, -1
	v_mov_b32_e32 v5, 0
	v_mov_b32_e32 v7, 0
	v_mov_b32_e32 v10, -1
	v_mov_b32_e32 v6, 0
	v_mov_b32_e32 v8, 0
	s_and_saveexec_b64 s[4:5], vcc
	s_cbranch_execz .LBB81_43
; %bb.42:                               ;   in Loop: Header=BB81_41 Depth=1
	global_load_dwordx4 v[30:33], v[13:14], off offset:-8 glc slc
	global_load_dwordx2 v[5:6], v[11:12], off offset:-4 glc slc
	v_mov_b32_e32 v9, s35
	s_waitcnt vmcnt(1)
	v_lshlrev_b64 v[7:8], 4, v[32:33]
	s_waitcnt vmcnt(0)
	v_cvt_f64_f32_e32 v[17:18], v6
	v_add_co_u32_e32 v7, vcc, s33, v7
	v_addc_co_u32_e32 v8, vcc, v9, v8, vcc
	global_load_dwordx4 v[7:10], v[7:8], off
	v_cvt_f64_f32_e32 v[5:6], v5
	s_waitcnt vmcnt(0)
	v_mul_f64 v[32:33], v[9:10], -v[17:18]
	v_mul_f64 v[9:10], v[9:10], v[5:6]
	v_fma_f64 v[5:6], v[5:6], v[7:8], v[32:33]
	v_fma_f64 v[7:8], v[17:18], v[7:8], v[9:10]
	v_subrev_co_u32_e32 v9, vcc, s34, v30
	v_subbrev_co_u32_e32 v10, vcc, 0, v31, vcc
.LBB81_43:                              ;   in Loop: Header=BB81_41 Depth=1
	s_or_b64 exec, exec, s[4:5]
	s_and_saveexec_b64 s[4:5], s[0:1]
	s_cbranch_execz .LBB81_50
; %bb.44:                               ;   in Loop: Header=BB81_41 Depth=1
	ds_read_b64 v[17:18], v29 offset:6136
	s_waitcnt lgkmcnt(0)
	v_cmp_ne_u64_e32 vcc, v[9:10], v[17:18]
	s_and_saveexec_b64 s[36:37], vcc
	s_xor_b64 s[36:37], exec, s[36:37]
	s_cbranch_execz .LBB81_47
; %bb.45:                               ;   in Loop: Header=BB81_41 Depth=1
	v_cmp_gt_i64_e32 vcc, 0, v[17:18]
	s_cbranch_vccnz .LBB81_47
; %bb.46:                               ;   in Loop: Header=BB81_41 Depth=1
	v_lshlrev_b64 v[17:18], 4, v[17:18]
	v_mov_b32_e32 v30, s41
	v_add_co_u32_e32 v17, vcc, s40, v17
	v_addc_co_u32_e32 v18, vcc, v30, v18, vcc
	global_load_dwordx4 v[30:33], v[17:18], off
	ds_read_b128 v[34:37], v29 offset:4080
	s_waitcnt vmcnt(0) lgkmcnt(0)
	v_fma_f64 v[30:31], v[1:2], v[34:35], v[30:31]
	v_fma_f64 v[32:33], v[3:4], v[34:35], v[32:33]
	v_fma_f64 v[30:31], -v[3:4], v[36:37], v[30:31]
	v_fma_f64 v[32:33], v[1:2], v[36:37], v[32:33]
	global_store_dwordx4 v[17:18], v[30:33], off
.LBB81_47:                              ;   in Loop: Header=BB81_41 Depth=1
	s_andn2_saveexec_b64 s[36:37], s[36:37]
	s_cbranch_execz .LBB81_49
; %bb.48:                               ;   in Loop: Header=BB81_41 Depth=1
	ds_read_b128 v[30:33], v29 offset:4080
	s_waitcnt lgkmcnt(0)
	v_add_f64 v[5:6], v[5:6], v[30:31]
	v_add_f64 v[7:8], v[7:8], v[32:33]
.LBB81_49:                              ;   in Loop: Header=BB81_41 Depth=1
	s_or_b64 exec, exec, s[36:37]
.LBB81_50:                              ;   in Loop: Header=BB81_41 Depth=1
	s_or_b64 exec, exec, s[4:5]
	s_waitcnt vmcnt(0) lgkmcnt(0)
	s_barrier
	ds_write_b64 v19, v[9:10]
	ds_write_b128 v20, v[5:8]
	s_waitcnt lgkmcnt(0)
	s_barrier
	s_and_saveexec_b64 s[4:5], s[2:3]
	s_cbranch_execz .LBB81_54
; %bb.51:                               ;   in Loop: Header=BB81_41 Depth=1
	ds_read_b64 v[17:18], v21
	s_waitcnt lgkmcnt(0)
	v_cmp_eq_u64_e32 vcc, v[9:10], v[17:18]
	s_and_saveexec_b64 s[36:37], vcc
	s_cbranch_execz .LBB81_53
; %bb.52:                               ;   in Loop: Header=BB81_41 Depth=1
	v_add_u32_e32 v17, -16, v20
	ds_read_b128 v[30:33], v17
	s_waitcnt lgkmcnt(0)
	v_add_f64 v[5:6], v[5:6], v[30:31]
	v_add_f64 v[7:8], v[7:8], v[32:33]
.LBB81_53:                              ;   in Loop: Header=BB81_41 Depth=1
	s_or_b64 exec, exec, s[36:37]
.LBB81_54:                              ;   in Loop: Header=BB81_41 Depth=1
	s_or_b64 exec, exec, s[4:5]
	s_barrier
	ds_write_b128 v20, v[5:8]
	s_waitcnt lgkmcnt(0)
	s_barrier
	s_and_saveexec_b64 s[4:5], s[22:23]
	s_cbranch_execz .LBB81_58
; %bb.55:                               ;   in Loop: Header=BB81_41 Depth=1
	ds_read_b64 v[17:18], v22
	s_waitcnt lgkmcnt(0)
	v_cmp_eq_u64_e32 vcc, v[9:10], v[17:18]
	s_and_saveexec_b64 s[36:37], vcc
	s_cbranch_execz .LBB81_57
; %bb.56:                               ;   in Loop: Header=BB81_41 Depth=1
	v_subrev_u32_e32 v17, 32, v20
	ds_read_b128 v[30:33], v17
	s_waitcnt lgkmcnt(0)
	v_add_f64 v[5:6], v[5:6], v[30:31]
	v_add_f64 v[7:8], v[7:8], v[32:33]
.LBB81_57:                              ;   in Loop: Header=BB81_41 Depth=1
	s_or_b64 exec, exec, s[36:37]
.LBB81_58:                              ;   in Loop: Header=BB81_41 Depth=1
	s_or_b64 exec, exec, s[4:5]
	s_barrier
	ds_write_b128 v20, v[5:8]
	s_waitcnt lgkmcnt(0)
	s_barrier
	s_and_saveexec_b64 s[4:5], s[8:9]
	s_cbranch_execz .LBB81_62
; %bb.59:                               ;   in Loop: Header=BB81_41 Depth=1
	ds_read_b64 v[17:18], v23
	s_waitcnt lgkmcnt(0)
	v_cmp_eq_u64_e32 vcc, v[9:10], v[17:18]
	s_and_saveexec_b64 s[36:37], vcc
	s_cbranch_execz .LBB81_61
; %bb.60:                               ;   in Loop: Header=BB81_41 Depth=1
	v_subrev_u32_e32 v17, 64, v20
	ds_read_b128 v[30:33], v17
	s_waitcnt lgkmcnt(0)
	v_add_f64 v[5:6], v[5:6], v[30:31]
	v_add_f64 v[7:8], v[7:8], v[32:33]
.LBB81_61:                              ;   in Loop: Header=BB81_41 Depth=1
	s_or_b64 exec, exec, s[36:37]
.LBB81_62:                              ;   in Loop: Header=BB81_41 Depth=1
	s_or_b64 exec, exec, s[4:5]
	s_barrier
	ds_write_b128 v20, v[5:8]
	s_waitcnt lgkmcnt(0)
	s_barrier
	s_and_saveexec_b64 s[4:5], s[10:11]
	s_cbranch_execz .LBB81_66
; %bb.63:                               ;   in Loop: Header=BB81_41 Depth=1
	ds_read_b64 v[17:18], v24
	s_waitcnt lgkmcnt(0)
	v_cmp_eq_u64_e32 vcc, v[9:10], v[17:18]
	s_and_saveexec_b64 s[36:37], vcc
	s_cbranch_execz .LBB81_65
; %bb.64:                               ;   in Loop: Header=BB81_41 Depth=1
	v_add_u32_e32 v17, 0xffffff80, v20
	ds_read_b128 v[30:33], v17
	s_waitcnt lgkmcnt(0)
	v_add_f64 v[5:6], v[5:6], v[30:31]
	v_add_f64 v[7:8], v[7:8], v[32:33]
.LBB81_65:                              ;   in Loop: Header=BB81_41 Depth=1
	s_or_b64 exec, exec, s[36:37]
.LBB81_66:                              ;   in Loop: Header=BB81_41 Depth=1
	s_or_b64 exec, exec, s[4:5]
	s_barrier
	ds_write_b128 v20, v[5:8]
	s_waitcnt lgkmcnt(0)
	s_barrier
	s_and_saveexec_b64 s[4:5], s[12:13]
	s_cbranch_execz .LBB81_70
; %bb.67:                               ;   in Loop: Header=BB81_41 Depth=1
	v_add_u32_e32 v17, 0xffffff80, v19
	ds_read_b64 v[17:18], v17
	s_waitcnt lgkmcnt(0)
	v_cmp_eq_u64_e32 vcc, v[9:10], v[17:18]
	s_and_saveexec_b64 s[36:37], vcc
	s_cbranch_execz .LBB81_69
; %bb.68:                               ;   in Loop: Header=BB81_41 Depth=1
	v_add_u32_e32 v17, 0xffffff00, v20
	ds_read_b128 v[30:33], v17
	s_waitcnt lgkmcnt(0)
	v_add_f64 v[5:6], v[5:6], v[30:31]
	v_add_f64 v[7:8], v[7:8], v[32:33]
.LBB81_69:                              ;   in Loop: Header=BB81_41 Depth=1
	s_or_b64 exec, exec, s[36:37]
.LBB81_70:                              ;   in Loop: Header=BB81_41 Depth=1
	s_or_b64 exec, exec, s[4:5]
	s_barrier
	ds_write_b128 v20, v[5:8]
	s_waitcnt lgkmcnt(0)
	s_barrier
	s_and_saveexec_b64 s[4:5], s[14:15]
	s_cbranch_execz .LBB81_74
; %bb.71:                               ;   in Loop: Header=BB81_41 Depth=1
	v_add_u32_e32 v17, 0xffffff00, v19
	ds_read_b64 v[17:18], v17
	s_waitcnt lgkmcnt(0)
	v_cmp_eq_u64_e32 vcc, v[9:10], v[17:18]
	s_and_saveexec_b64 s[36:37], vcc
	s_cbranch_execz .LBB81_73
; %bb.72:                               ;   in Loop: Header=BB81_41 Depth=1
	v_add_u32_e32 v17, 0xfffffe00, v20
	ds_read_b128 v[30:33], v17
	s_waitcnt lgkmcnt(0)
	v_add_f64 v[5:6], v[5:6], v[30:31]
	v_add_f64 v[7:8], v[7:8], v[32:33]
.LBB81_73:                              ;   in Loop: Header=BB81_41 Depth=1
	s_or_b64 exec, exec, s[36:37]
.LBB81_74:                              ;   in Loop: Header=BB81_41 Depth=1
	s_or_b64 exec, exec, s[4:5]
	s_barrier
	ds_write_b128 v20, v[5:8]
	s_waitcnt lgkmcnt(0)
	s_barrier
	s_and_saveexec_b64 s[4:5], s[16:17]
	s_cbranch_execz .LBB81_78
; %bb.75:                               ;   in Loop: Header=BB81_41 Depth=1
	ds_read_b64 v[17:18], v25
	s_waitcnt lgkmcnt(0)
	v_cmp_eq_u64_e32 vcc, v[9:10], v[17:18]
	s_and_saveexec_b64 s[36:37], vcc
	s_cbranch_execz .LBB81_77
; %bb.76:                               ;   in Loop: Header=BB81_41 Depth=1
	ds_read_b128 v[30:33], v26
	s_waitcnt lgkmcnt(0)
	v_add_f64 v[5:6], v[5:6], v[30:31]
	v_add_f64 v[7:8], v[7:8], v[32:33]
.LBB81_77:                              ;   in Loop: Header=BB81_41 Depth=1
	s_or_b64 exec, exec, s[36:37]
.LBB81_78:                              ;   in Loop: Header=BB81_41 Depth=1
	s_or_b64 exec, exec, s[4:5]
	s_barrier
	ds_write_b128 v20, v[5:8]
	s_waitcnt lgkmcnt(0)
	s_barrier
	s_and_saveexec_b64 s[4:5], s[18:19]
	s_cbranch_execz .LBB81_82
; %bb.79:                               ;   in Loop: Header=BB81_41 Depth=1
	ds_read_b64 v[17:18], v27
	s_waitcnt lgkmcnt(0)
	v_cmp_eq_u64_e32 vcc, v[9:10], v[17:18]
	s_and_saveexec_b64 s[36:37], vcc
	s_cbranch_execz .LBB81_81
; %bb.80:                               ;   in Loop: Header=BB81_41 Depth=1
	ds_read_b128 v[30:33], v28
	s_waitcnt lgkmcnt(0)
	v_add_f64 v[5:6], v[5:6], v[30:31]
	v_add_f64 v[7:8], v[7:8], v[32:33]
.LBB81_81:                              ;   in Loop: Header=BB81_41 Depth=1
	s_or_b64 exec, exec, s[36:37]
.LBB81_82:                              ;   in Loop: Header=BB81_41 Depth=1
	s_or_b64 exec, exec, s[4:5]
	s_barrier
	ds_write_b128 v20, v[5:8]
	s_waitcnt lgkmcnt(0)
	s_barrier
	s_and_saveexec_b64 s[36:37], s[20:21]
	s_cbranch_execz .LBB81_40
; %bb.83:                               ;   in Loop: Header=BB81_41 Depth=1
	ds_read_b64 v[17:18], v19 offset:8
	v_cmp_lt_i64_e64 s[4:5], -1, v[9:10]
	s_waitcnt lgkmcnt(0)
	v_cmp_ne_u64_e32 vcc, v[9:10], v[17:18]
	s_and_b64 s[4:5], s[4:5], vcc
	s_and_b64 exec, exec, s[4:5]
	s_cbranch_execz .LBB81_40
; %bb.84:                               ;   in Loop: Header=BB81_41 Depth=1
	v_lshlrev_b64 v[17:18], 4, v[9:10]
	v_mov_b32_e32 v30, s41
	v_add_co_u32_e32 v17, vcc, s40, v17
	v_addc_co_u32_e32 v18, vcc, v30, v18, vcc
	global_load_dwordx4 v[30:33], v[17:18], off
	s_waitcnt vmcnt(0)
	v_fma_f64 v[30:31], v[1:2], v[5:6], v[30:31]
	v_fma_f64 v[32:33], v[3:4], v[5:6], v[32:33]
	v_fma_f64 v[30:31], -v[3:4], v[7:8], v[30:31]
	v_fma_f64 v[32:33], v[1:2], v[7:8], v[32:33]
	global_store_dwordx4 v[17:18], v[30:33], off
	s_branch .LBB81_40
.LBB81_85:
	s_movk_i32 s0, 0xff
	v_cmp_eq_u32_e32 vcc, s0, v0
	s_and_b64 exec, exec, vcc
	s_cbranch_execz .LBB81_87
; %bb.86:
	v_mul_f64 v[11:12], v[7:8], -v[3:4]
	v_mul_f64 v[7:8], v[1:2], v[7:8]
	s_lshl_b64 s[0:1], s[6:7], 3
	s_waitcnt lgkmcnt(0)
	s_add_u32 s0, s24, s0
	s_addc_u32 s1, s25, s1
	v_fma_f64 v[0:1], v[1:2], v[5:6], v[11:12]
	v_fma_f64 v[2:3], v[3:4], v[5:6], v[7:8]
	v_mov_b32_e32 v4, 0
	global_store_dwordx2 v4, v[9:10], s[0:1] glc slc
	s_lshl_b64 s[0:1], s[6:7], 4
	s_add_u32 s0, s26, s0
	s_addc_u32 s1, s27, s1
	global_store_dwordx4 v4, v[0:3], s[0:1] glc slc
.LBB81_87:
	s_endpgm
	.section	.rodata,"a",@progbits
	.p2align	6, 0x0
	.amdhsa_kernel _ZN9rocsparseL26coomvn_aos_segmented_loopsILj256El21rocsparse_complex_numIfES1_IdES3_S3_EEvlT0_NS_24const_host_device_scalarIT4_EEPKS4_PKT1_PKT2_PT3_PS4_PS6_21rocsparse_index_base_b
		.amdhsa_group_segment_fixed_size 6144
		.amdhsa_private_segment_fixed_size 0
		.amdhsa_kernarg_size 88
		.amdhsa_user_sgpr_count 6
		.amdhsa_user_sgpr_private_segment_buffer 1
		.amdhsa_user_sgpr_dispatch_ptr 0
		.amdhsa_user_sgpr_queue_ptr 0
		.amdhsa_user_sgpr_kernarg_segment_ptr 1
		.amdhsa_user_sgpr_dispatch_id 0
		.amdhsa_user_sgpr_flat_scratch_init 0
		.amdhsa_user_sgpr_private_segment_size 0
		.amdhsa_uses_dynamic_stack 0
		.amdhsa_system_sgpr_private_segment_wavefront_offset 0
		.amdhsa_system_sgpr_workgroup_id_x 1
		.amdhsa_system_sgpr_workgroup_id_y 0
		.amdhsa_system_sgpr_workgroup_id_z 0
		.amdhsa_system_sgpr_workgroup_info 0
		.amdhsa_system_vgpr_workitem_id 0
		.amdhsa_next_free_vgpr 38
		.amdhsa_next_free_sgpr 46
		.amdhsa_reserve_vcc 1
		.amdhsa_reserve_flat_scratch 0
		.amdhsa_float_round_mode_32 0
		.amdhsa_float_round_mode_16_64 0
		.amdhsa_float_denorm_mode_32 3
		.amdhsa_float_denorm_mode_16_64 3
		.amdhsa_dx10_clamp 1
		.amdhsa_ieee_mode 1
		.amdhsa_fp16_overflow 0
		.amdhsa_exception_fp_ieee_invalid_op 0
		.amdhsa_exception_fp_denorm_src 0
		.amdhsa_exception_fp_ieee_div_zero 0
		.amdhsa_exception_fp_ieee_overflow 0
		.amdhsa_exception_fp_ieee_underflow 0
		.amdhsa_exception_fp_ieee_inexact 0
		.amdhsa_exception_int_div_zero 0
	.end_amdhsa_kernel
	.section	.text._ZN9rocsparseL26coomvn_aos_segmented_loopsILj256El21rocsparse_complex_numIfES1_IdES3_S3_EEvlT0_NS_24const_host_device_scalarIT4_EEPKS4_PKT1_PKT2_PT3_PS4_PS6_21rocsparse_index_base_b,"axG",@progbits,_ZN9rocsparseL26coomvn_aos_segmented_loopsILj256El21rocsparse_complex_numIfES1_IdES3_S3_EEvlT0_NS_24const_host_device_scalarIT4_EEPKS4_PKT1_PKT2_PT3_PS4_PS6_21rocsparse_index_base_b,comdat
.Lfunc_end81:
	.size	_ZN9rocsparseL26coomvn_aos_segmented_loopsILj256El21rocsparse_complex_numIfES1_IdES3_S3_EEvlT0_NS_24const_host_device_scalarIT4_EEPKS4_PKT1_PKT2_PT3_PS4_PS6_21rocsparse_index_base_b, .Lfunc_end81-_ZN9rocsparseL26coomvn_aos_segmented_loopsILj256El21rocsparse_complex_numIfES1_IdES3_S3_EEvlT0_NS_24const_host_device_scalarIT4_EEPKS4_PKT1_PKT2_PT3_PS4_PS6_21rocsparse_index_base_b
                                        ; -- End function
	.set _ZN9rocsparseL26coomvn_aos_segmented_loopsILj256El21rocsparse_complex_numIfES1_IdES3_S3_EEvlT0_NS_24const_host_device_scalarIT4_EEPKS4_PKT1_PKT2_PT3_PS4_PS6_21rocsparse_index_base_b.num_vgpr, 38
	.set _ZN9rocsparseL26coomvn_aos_segmented_loopsILj256El21rocsparse_complex_numIfES1_IdES3_S3_EEvlT0_NS_24const_host_device_scalarIT4_EEPKS4_PKT1_PKT2_PT3_PS4_PS6_21rocsparse_index_base_b.num_agpr, 0
	.set _ZN9rocsparseL26coomvn_aos_segmented_loopsILj256El21rocsparse_complex_numIfES1_IdES3_S3_EEvlT0_NS_24const_host_device_scalarIT4_EEPKS4_PKT1_PKT2_PT3_PS4_PS6_21rocsparse_index_base_b.numbered_sgpr, 46
	.set _ZN9rocsparseL26coomvn_aos_segmented_loopsILj256El21rocsparse_complex_numIfES1_IdES3_S3_EEvlT0_NS_24const_host_device_scalarIT4_EEPKS4_PKT1_PKT2_PT3_PS4_PS6_21rocsparse_index_base_b.num_named_barrier, 0
	.set _ZN9rocsparseL26coomvn_aos_segmented_loopsILj256El21rocsparse_complex_numIfES1_IdES3_S3_EEvlT0_NS_24const_host_device_scalarIT4_EEPKS4_PKT1_PKT2_PT3_PS4_PS6_21rocsparse_index_base_b.private_seg_size, 0
	.set _ZN9rocsparseL26coomvn_aos_segmented_loopsILj256El21rocsparse_complex_numIfES1_IdES3_S3_EEvlT0_NS_24const_host_device_scalarIT4_EEPKS4_PKT1_PKT2_PT3_PS4_PS6_21rocsparse_index_base_b.uses_vcc, 1
	.set _ZN9rocsparseL26coomvn_aos_segmented_loopsILj256El21rocsparse_complex_numIfES1_IdES3_S3_EEvlT0_NS_24const_host_device_scalarIT4_EEPKS4_PKT1_PKT2_PT3_PS4_PS6_21rocsparse_index_base_b.uses_flat_scratch, 0
	.set _ZN9rocsparseL26coomvn_aos_segmented_loopsILj256El21rocsparse_complex_numIfES1_IdES3_S3_EEvlT0_NS_24const_host_device_scalarIT4_EEPKS4_PKT1_PKT2_PT3_PS4_PS6_21rocsparse_index_base_b.has_dyn_sized_stack, 0
	.set _ZN9rocsparseL26coomvn_aos_segmented_loopsILj256El21rocsparse_complex_numIfES1_IdES3_S3_EEvlT0_NS_24const_host_device_scalarIT4_EEPKS4_PKT1_PKT2_PT3_PS4_PS6_21rocsparse_index_base_b.has_recursion, 0
	.set _ZN9rocsparseL26coomvn_aos_segmented_loopsILj256El21rocsparse_complex_numIfES1_IdES3_S3_EEvlT0_NS_24const_host_device_scalarIT4_EEPKS4_PKT1_PKT2_PT3_PS4_PS6_21rocsparse_index_base_b.has_indirect_call, 0
	.section	.AMDGPU.csdata,"",@progbits
; Kernel info:
; codeLenInByte = 2996
; TotalNumSgprs: 50
; NumVgprs: 38
; ScratchSize: 0
; MemoryBound: 0
; FloatMode: 240
; IeeeMode: 1
; LDSByteSize: 6144 bytes/workgroup (compile time only)
; SGPRBlocks: 6
; VGPRBlocks: 9
; NumSGPRsForWavesPerEU: 50
; NumVGPRsForWavesPerEU: 38
; Occupancy: 6
; WaveLimiterHint : 1
; COMPUTE_PGM_RSRC2:SCRATCH_EN: 0
; COMPUTE_PGM_RSRC2:USER_SGPR: 6
; COMPUTE_PGM_RSRC2:TRAP_HANDLER: 0
; COMPUTE_PGM_RSRC2:TGID_X_EN: 1
; COMPUTE_PGM_RSRC2:TGID_Y_EN: 0
; COMPUTE_PGM_RSRC2:TGID_Z_EN: 0
; COMPUTE_PGM_RSRC2:TIDIG_COMP_CNT: 0
	.section	.AMDGPU.gpr_maximums,"",@progbits
	.set amdgpu.max_num_vgpr, 0
	.set amdgpu.max_num_agpr, 0
	.set amdgpu.max_num_sgpr, 0
	.section	.AMDGPU.csdata,"",@progbits
	.type	__hip_cuid_97a2e1ae256010b9,@object ; @__hip_cuid_97a2e1ae256010b9
	.section	.bss,"aw",@nobits
	.globl	__hip_cuid_97a2e1ae256010b9
__hip_cuid_97a2e1ae256010b9:
	.byte	0                               ; 0x0
	.size	__hip_cuid_97a2e1ae256010b9, 1

	.ident	"AMD clang version 22.0.0git (https://github.com/RadeonOpenCompute/llvm-project roc-7.2.4 26084 f58b06dce1f9c15707c5f808fd002e18c2accf7e)"
	.section	".note.GNU-stack","",@progbits
	.addrsig
	.addrsig_sym __hip_cuid_97a2e1ae256010b9
	.amdgpu_metadata
---
amdhsa.kernels:
  - .args:
      - .offset:         0
        .size:           8
        .value_kind:     by_value
      - .offset:         8
        .size:           8
        .value_kind:     by_value
      - .actual_access:  read_only
        .address_space:  global
        .offset:         16
        .size:           8
        .value_kind:     global_buffer
      - .actual_access:  read_only
        .address_space:  global
        .offset:         24
        .size:           8
        .value_kind:     global_buffer
      - .actual_access:  read_only
        .address_space:  global
        .offset:         32
        .size:           8
        .value_kind:     global_buffer
      - .address_space:  global
        .offset:         40
        .size:           8
        .value_kind:     global_buffer
      - .offset:         48
        .size:           4
        .value_kind:     by_value
      - .offset:         52
        .size:           1
        .value_kind:     by_value
    .group_segment_fixed_size: 2048
    .kernarg_segment_align: 8
    .kernarg_segment_size: 56
    .language:       OpenCL C
    .language_version:
      - 2
      - 0
    .max_flat_workgroup_size: 256
    .name:           _ZN9rocsparseL23coomvn_aos_atomic_loopsILj256ELj1EiffffEEvlNS_24const_host_device_scalarIT5_EEPKT1_PKT2_PKT3_PT4_21rocsparse_index_base_b
    .private_segment_fixed_size: 0
    .sgpr_count:     20
    .sgpr_spill_count: 0
    .symbol:         _ZN9rocsparseL23coomvn_aos_atomic_loopsILj256ELj1EiffffEEvlNS_24const_host_device_scalarIT5_EEPKT1_PKT2_PKT3_PT4_21rocsparse_index_base_b.kd
    .uniform_work_group_size: 1
    .uses_dynamic_stack: false
    .vgpr_count:     8
    .vgpr_spill_count: 0
    .wavefront_size: 64
  - .args:
      - .offset:         0
        .size:           4
        .value_kind:     by_value
      - .offset:         8
        .size:           8
        .value_kind:     by_value
      - .offset:         16
        .size:           8
        .value_kind:     by_value
      - .actual_access:  read_only
        .address_space:  global
        .offset:         24
        .size:           8
        .value_kind:     global_buffer
      - .actual_access:  read_only
        .address_space:  global
        .offset:         32
        .size:           8
        .value_kind:     global_buffer
      - .actual_access:  read_only
        .address_space:  global
        .offset:         40
        .size:           8
        .value_kind:     global_buffer
      - .address_space:  global
        .offset:         48
        .size:           8
        .value_kind:     global_buffer
      - .offset:         56
        .size:           4
        .value_kind:     by_value
      - .offset:         60
        .size:           1
        .value_kind:     by_value
      - .offset:         64
        .size:           4
        .value_kind:     hidden_block_count_x
      - .offset:         68
        .size:           4
        .value_kind:     hidden_block_count_y
      - .offset:         72
        .size:           4
        .value_kind:     hidden_block_count_z
      - .offset:         76
        .size:           2
        .value_kind:     hidden_group_size_x
      - .offset:         78
        .size:           2
        .value_kind:     hidden_group_size_y
      - .offset:         80
        .size:           2
        .value_kind:     hidden_group_size_z
      - .offset:         82
        .size:           2
        .value_kind:     hidden_remainder_x
      - .offset:         84
        .size:           2
        .value_kind:     hidden_remainder_y
      - .offset:         86
        .size:           2
        .value_kind:     hidden_remainder_z
      - .offset:         104
        .size:           8
        .value_kind:     hidden_global_offset_x
      - .offset:         112
        .size:           8
        .value_kind:     hidden_global_offset_y
      - .offset:         120
        .size:           8
        .value_kind:     hidden_global_offset_z
      - .offset:         128
        .size:           2
        .value_kind:     hidden_grid_dims
    .group_segment_fixed_size: 0
    .kernarg_segment_align: 8
    .kernarg_segment_size: 320
    .language:       OpenCL C
    .language_version:
      - 2
      - 0
    .max_flat_workgroup_size: 1024
    .name:           _ZN9rocsparseL17coomvt_aos_kernelILj1024EiffffEEv20rocsparse_operation_lNS_24const_host_device_scalarIT4_EEPKT0_PKT1_PKT2_PT3_21rocsparse_index_base_b
    .private_segment_fixed_size: 0
    .sgpr_count:     22
    .sgpr_spill_count: 0
    .symbol:         _ZN9rocsparseL17coomvt_aos_kernelILj1024EiffffEEv20rocsparse_operation_lNS_24const_host_device_scalarIT4_EEPKT0_PKT1_PKT2_PT3_21rocsparse_index_base_b.kd
    .uniform_work_group_size: 1
    .uses_dynamic_stack: false
    .vgpr_count:     7
    .vgpr_spill_count: 0
    .wavefront_size: 64
  - .args:
      - .offset:         0
        .size:           8
        .value_kind:     by_value
      - .offset:         8
        .size:           4
        .value_kind:     by_value
      - .offset:         16
        .size:           8
        .value_kind:     by_value
      - .actual_access:  read_only
        .address_space:  global
        .offset:         24
        .size:           8
        .value_kind:     global_buffer
      - .actual_access:  read_only
        .address_space:  global
        .offset:         32
        .size:           8
        .value_kind:     global_buffer
      - .actual_access:  read_only
        .address_space:  global
        .offset:         40
        .size:           8
        .value_kind:     global_buffer
      - .address_space:  global
        .offset:         48
        .size:           8
        .value_kind:     global_buffer
      - .actual_access:  write_only
        .address_space:  global
        .offset:         56
        .size:           8
        .value_kind:     global_buffer
      - .actual_access:  write_only
        .address_space:  global
        .offset:         64
        .size:           8
        .value_kind:     global_buffer
      - .offset:         72
        .size:           4
        .value_kind:     by_value
      - .offset:         76
        .size:           1
        .value_kind:     by_value
    .group_segment_fixed_size: 2048
    .kernarg_segment_align: 8
    .kernarg_segment_size: 80
    .language:       OpenCL C
    .language_version:
      - 2
      - 0
    .max_flat_workgroup_size: 256
    .name:           _ZN9rocsparseL26coomvn_aos_segmented_loopsILj256EiffffEEvlT0_NS_24const_host_device_scalarIT4_EEPKS1_PKT1_PKT2_PT3_PS1_PS3_21rocsparse_index_base_b
    .private_segment_fixed_size: 0
    .sgpr_count:     48
    .sgpr_spill_count: 0
    .symbol:         _ZN9rocsparseL26coomvn_aos_segmented_loopsILj256EiffffEEvlT0_NS_24const_host_device_scalarIT4_EEPKS1_PKT1_PKT2_PT3_PS1_PS3_21rocsparse_index_base_b.kd
    .uniform_work_group_size: 1
    .uses_dynamic_stack: false
    .vgpr_count:     30
    .vgpr_spill_count: 0
    .wavefront_size: 64
  - .args:
      - .offset:         0
        .size:           4
        .value_kind:     by_value
      - .offset:         8
        .size:           8
        .value_kind:     by_value
      - .actual_access:  read_only
        .address_space:  global
        .offset:         16
        .size:           8
        .value_kind:     global_buffer
      - .actual_access:  read_only
        .address_space:  global
        .offset:         24
        .size:           8
        .value_kind:     global_buffer
      - .address_space:  global
        .offset:         32
        .size:           8
        .value_kind:     global_buffer
      - .offset:         40
        .size:           1
        .value_kind:     by_value
    .group_segment_fixed_size: 2048
    .kernarg_segment_align: 8
    .kernarg_segment_size: 44
    .language:       OpenCL C
    .language_version:
      - 2
      - 0
    .max_flat_workgroup_size: 256
    .name:           _ZN9rocsparseL29coomvn_segmented_loops_reduceILj256EiffEEvT0_NS_24const_host_device_scalarIT2_EEPKS1_PKS3_PT1_b
    .private_segment_fixed_size: 0
    .sgpr_count:     34
    .sgpr_spill_count: 0
    .symbol:         _ZN9rocsparseL29coomvn_segmented_loops_reduceILj256EiffEEvT0_NS_24const_host_device_scalarIT2_EEPKS1_PKS3_PT1_b.kd
    .uniform_work_group_size: 1
    .uses_dynamic_stack: false
    .vgpr_count:     25
    .vgpr_spill_count: 0
    .wavefront_size: 64
  - .args:
      - .offset:         0
        .size:           8
        .value_kind:     by_value
      - .offset:         8
        .size:           8
        .value_kind:     by_value
      - .actual_access:  read_only
        .address_space:  global
        .offset:         16
        .size:           8
        .value_kind:     global_buffer
      - .actual_access:  read_only
        .address_space:  global
        .offset:         24
        .size:           8
        .value_kind:     global_buffer
      - .actual_access:  read_only
        .address_space:  global
        .offset:         32
        .size:           8
        .value_kind:     global_buffer
      - .address_space:  global
        .offset:         40
        .size:           8
        .value_kind:     global_buffer
      - .offset:         48
        .size:           4
        .value_kind:     by_value
      - .offset:         52
        .size:           1
        .value_kind:     by_value
    .group_segment_fixed_size: 3072
    .kernarg_segment_align: 8
    .kernarg_segment_size: 56
    .language:       OpenCL C
    .language_version:
      - 2
      - 0
    .max_flat_workgroup_size: 256
    .name:           _ZN9rocsparseL23coomvn_aos_atomic_loopsILj256ELj1ElffffEEvlNS_24const_host_device_scalarIT5_EEPKT1_PKT2_PKT3_PT4_21rocsparse_index_base_b
    .private_segment_fixed_size: 0
    .sgpr_count:     20
    .sgpr_spill_count: 0
    .symbol:         _ZN9rocsparseL23coomvn_aos_atomic_loopsILj256ELj1ElffffEEvlNS_24const_host_device_scalarIT5_EEPKT1_PKT2_PKT3_PT4_21rocsparse_index_base_b.kd
    .uniform_work_group_size: 1
    .uses_dynamic_stack: false
    .vgpr_count:     9
    .vgpr_spill_count: 0
    .wavefront_size: 64
  - .args:
      - .offset:         0
        .size:           4
        .value_kind:     by_value
      - .offset:         8
        .size:           8
        .value_kind:     by_value
      - .offset:         16
        .size:           8
        .value_kind:     by_value
      - .actual_access:  read_only
        .address_space:  global
        .offset:         24
        .size:           8
        .value_kind:     global_buffer
      - .actual_access:  read_only
        .address_space:  global
        .offset:         32
        .size:           8
        .value_kind:     global_buffer
      - .actual_access:  read_only
        .address_space:  global
        .offset:         40
        .size:           8
        .value_kind:     global_buffer
      - .address_space:  global
        .offset:         48
        .size:           8
        .value_kind:     global_buffer
      - .offset:         56
        .size:           4
        .value_kind:     by_value
      - .offset:         60
        .size:           1
        .value_kind:     by_value
      - .offset:         64
        .size:           4
        .value_kind:     hidden_block_count_x
      - .offset:         68
        .size:           4
        .value_kind:     hidden_block_count_y
      - .offset:         72
        .size:           4
        .value_kind:     hidden_block_count_z
      - .offset:         76
        .size:           2
        .value_kind:     hidden_group_size_x
      - .offset:         78
        .size:           2
        .value_kind:     hidden_group_size_y
      - .offset:         80
        .size:           2
        .value_kind:     hidden_group_size_z
      - .offset:         82
        .size:           2
        .value_kind:     hidden_remainder_x
      - .offset:         84
        .size:           2
        .value_kind:     hidden_remainder_y
      - .offset:         86
        .size:           2
        .value_kind:     hidden_remainder_z
      - .offset:         104
        .size:           8
        .value_kind:     hidden_global_offset_x
      - .offset:         112
        .size:           8
        .value_kind:     hidden_global_offset_y
      - .offset:         120
        .size:           8
        .value_kind:     hidden_global_offset_z
      - .offset:         128
        .size:           2
        .value_kind:     hidden_grid_dims
    .group_segment_fixed_size: 0
    .kernarg_segment_align: 8
    .kernarg_segment_size: 320
    .language:       OpenCL C
    .language_version:
      - 2
      - 0
    .max_flat_workgroup_size: 1024
    .name:           _ZN9rocsparseL17coomvt_aos_kernelILj1024ElffffEEv20rocsparse_operation_lNS_24const_host_device_scalarIT4_EEPKT0_PKT1_PKT2_PT3_21rocsparse_index_base_b
    .private_segment_fixed_size: 0
    .sgpr_count:     22
    .sgpr_spill_count: 0
    .symbol:         _ZN9rocsparseL17coomvt_aos_kernelILj1024ElffffEEv20rocsparse_operation_lNS_24const_host_device_scalarIT4_EEPKT0_PKT1_PKT2_PT3_21rocsparse_index_base_b.kd
    .uniform_work_group_size: 1
    .uses_dynamic_stack: false
    .vgpr_count:     9
    .vgpr_spill_count: 0
    .wavefront_size: 64
  - .args:
      - .offset:         0
        .size:           8
        .value_kind:     by_value
      - .offset:         8
        .size:           8
        .value_kind:     by_value
      - .offset:         16
        .size:           8
        .value_kind:     by_value
      - .actual_access:  read_only
        .address_space:  global
        .offset:         24
        .size:           8
        .value_kind:     global_buffer
      - .actual_access:  read_only
        .address_space:  global
        .offset:         32
        .size:           8
        .value_kind:     global_buffer
      - .actual_access:  read_only
        .address_space:  global
        .offset:         40
        .size:           8
        .value_kind:     global_buffer
      - .address_space:  global
        .offset:         48
        .size:           8
        .value_kind:     global_buffer
      - .actual_access:  write_only
        .address_space:  global
        .offset:         56
        .size:           8
        .value_kind:     global_buffer
      - .actual_access:  write_only
        .address_space:  global
        .offset:         64
        .size:           8
        .value_kind:     global_buffer
      - .offset:         72
        .size:           4
        .value_kind:     by_value
      - .offset:         76
        .size:           1
        .value_kind:     by_value
    .group_segment_fixed_size: 3072
    .kernarg_segment_align: 8
    .kernarg_segment_size: 80
    .language:       OpenCL C
    .language_version:
      - 2
      - 0
    .max_flat_workgroup_size: 256
    .name:           _ZN9rocsparseL26coomvn_aos_segmented_loopsILj256ElffffEEvlT0_NS_24const_host_device_scalarIT4_EEPKS1_PKT1_PKT2_PT3_PS1_PS3_21rocsparse_index_base_b
    .private_segment_fixed_size: 0
    .sgpr_count:     52
    .sgpr_spill_count: 0
    .symbol:         _ZN9rocsparseL26coomvn_aos_segmented_loopsILj256ElffffEEvlT0_NS_24const_host_device_scalarIT4_EEPKS1_PKT1_PKT2_PT3_PS1_PS3_21rocsparse_index_base_b.kd
    .uniform_work_group_size: 1
    .uses_dynamic_stack: false
    .vgpr_count:     33
    .vgpr_spill_count: 0
    .wavefront_size: 64
  - .args:
      - .offset:         0
        .size:           8
        .value_kind:     by_value
      - .offset:         8
        .size:           8
        .value_kind:     by_value
      - .actual_access:  read_only
        .address_space:  global
        .offset:         16
        .size:           8
        .value_kind:     global_buffer
      - .actual_access:  read_only
        .address_space:  global
        .offset:         24
        .size:           8
        .value_kind:     global_buffer
      - .address_space:  global
        .offset:         32
        .size:           8
        .value_kind:     global_buffer
      - .offset:         40
        .size:           1
        .value_kind:     by_value
    .group_segment_fixed_size: 3072
    .kernarg_segment_align: 8
    .kernarg_segment_size: 44
    .language:       OpenCL C
    .language_version:
      - 2
      - 0
    .max_flat_workgroup_size: 256
    .name:           _ZN9rocsparseL29coomvn_segmented_loops_reduceILj256ElffEEvT0_NS_24const_host_device_scalarIT2_EEPKS1_PKS3_PT1_b
    .private_segment_fixed_size: 0
    .sgpr_count:     32
    .sgpr_spill_count: 0
    .symbol:         _ZN9rocsparseL29coomvn_segmented_loops_reduceILj256ElffEEvT0_NS_24const_host_device_scalarIT2_EEPKS1_PKS3_PT1_b.kd
    .uniform_work_group_size: 1
    .uses_dynamic_stack: false
    .vgpr_count:     31
    .vgpr_spill_count: 0
    .wavefront_size: 64
  - .args:
      - .offset:         0
        .size:           8
        .value_kind:     by_value
      - .offset:         8
        .size:           8
        .value_kind:     by_value
      - .actual_access:  read_only
        .address_space:  global
        .offset:         16
        .size:           8
        .value_kind:     global_buffer
      - .actual_access:  read_only
        .address_space:  global
        .offset:         24
        .size:           8
        .value_kind:     global_buffer
      - .actual_access:  read_only
        .address_space:  global
        .offset:         32
        .size:           8
        .value_kind:     global_buffer
      - .address_space:  global
        .offset:         40
        .size:           8
        .value_kind:     global_buffer
      - .offset:         48
        .size:           4
        .value_kind:     by_value
      - .offset:         52
        .size:           1
        .value_kind:     by_value
    .group_segment_fixed_size: 3072
    .kernarg_segment_align: 8
    .kernarg_segment_size: 56
    .language:       OpenCL C
    .language_version:
      - 2
      - 0
    .max_flat_workgroup_size: 256
    .name:           _ZN9rocsparseL23coomvn_aos_atomic_loopsILj256ELj1EiddddEEvlNS_24const_host_device_scalarIT5_EEPKT1_PKT2_PKT3_PT4_21rocsparse_index_base_b
    .private_segment_fixed_size: 0
    .sgpr_count:     20
    .sgpr_spill_count: 0
    .symbol:         _ZN9rocsparseL23coomvn_aos_atomic_loopsILj256ELj1EiddddEEvlNS_24const_host_device_scalarIT5_EEPKT1_PKT2_PKT3_PT4_21rocsparse_index_base_b.kd
    .uniform_work_group_size: 1
    .uses_dynamic_stack: false
    .vgpr_count:     14
    .vgpr_spill_count: 0
    .wavefront_size: 64
  - .args:
      - .offset:         0
        .size:           4
        .value_kind:     by_value
      - .offset:         8
        .size:           8
        .value_kind:     by_value
      - .offset:         16
        .size:           8
        .value_kind:     by_value
      - .actual_access:  read_only
        .address_space:  global
        .offset:         24
        .size:           8
        .value_kind:     global_buffer
      - .actual_access:  read_only
        .address_space:  global
        .offset:         32
        .size:           8
        .value_kind:     global_buffer
      - .actual_access:  read_only
        .address_space:  global
        .offset:         40
        .size:           8
        .value_kind:     global_buffer
      - .address_space:  global
        .offset:         48
        .size:           8
        .value_kind:     global_buffer
      - .offset:         56
        .size:           4
        .value_kind:     by_value
      - .offset:         60
        .size:           1
        .value_kind:     by_value
      - .offset:         64
        .size:           4
        .value_kind:     hidden_block_count_x
      - .offset:         68
        .size:           4
        .value_kind:     hidden_block_count_y
      - .offset:         72
        .size:           4
        .value_kind:     hidden_block_count_z
      - .offset:         76
        .size:           2
        .value_kind:     hidden_group_size_x
      - .offset:         78
        .size:           2
        .value_kind:     hidden_group_size_y
      - .offset:         80
        .size:           2
        .value_kind:     hidden_group_size_z
      - .offset:         82
        .size:           2
        .value_kind:     hidden_remainder_x
      - .offset:         84
        .size:           2
        .value_kind:     hidden_remainder_y
      - .offset:         86
        .size:           2
        .value_kind:     hidden_remainder_z
      - .offset:         104
        .size:           8
        .value_kind:     hidden_global_offset_x
      - .offset:         112
        .size:           8
        .value_kind:     hidden_global_offset_y
      - .offset:         120
        .size:           8
        .value_kind:     hidden_global_offset_z
      - .offset:         128
        .size:           2
        .value_kind:     hidden_grid_dims
    .group_segment_fixed_size: 0
    .kernarg_segment_align: 8
    .kernarg_segment_size: 320
    .language:       OpenCL C
    .language_version:
      - 2
      - 0
    .max_flat_workgroup_size: 1024
    .name:           _ZN9rocsparseL17coomvt_aos_kernelILj1024EiddddEEv20rocsparse_operation_lNS_24const_host_device_scalarIT4_EEPKT0_PKT1_PKT2_PT3_21rocsparse_index_base_b
    .private_segment_fixed_size: 0
    .sgpr_count:     22
    .sgpr_spill_count: 0
    .symbol:         _ZN9rocsparseL17coomvt_aos_kernelILj1024EiddddEEv20rocsparse_operation_lNS_24const_host_device_scalarIT4_EEPKT0_PKT1_PKT2_PT3_21rocsparse_index_base_b.kd
    .uniform_work_group_size: 1
    .uses_dynamic_stack: false
    .vgpr_count:     10
    .vgpr_spill_count: 0
    .wavefront_size: 64
  - .args:
      - .offset:         0
        .size:           8
        .value_kind:     by_value
      - .offset:         8
        .size:           4
        .value_kind:     by_value
      - .offset:         16
        .size:           8
        .value_kind:     by_value
      - .actual_access:  read_only
        .address_space:  global
        .offset:         24
        .size:           8
        .value_kind:     global_buffer
      - .actual_access:  read_only
        .address_space:  global
        .offset:         32
        .size:           8
        .value_kind:     global_buffer
      - .actual_access:  read_only
        .address_space:  global
        .offset:         40
        .size:           8
        .value_kind:     global_buffer
      - .address_space:  global
        .offset:         48
        .size:           8
        .value_kind:     global_buffer
      - .actual_access:  write_only
        .address_space:  global
        .offset:         56
        .size:           8
        .value_kind:     global_buffer
      - .actual_access:  write_only
        .address_space:  global
        .offset:         64
        .size:           8
        .value_kind:     global_buffer
      - .offset:         72
        .size:           4
        .value_kind:     by_value
      - .offset:         76
        .size:           1
        .value_kind:     by_value
    .group_segment_fixed_size: 3072
    .kernarg_segment_align: 8
    .kernarg_segment_size: 80
    .language:       OpenCL C
    .language_version:
      - 2
      - 0
    .max_flat_workgroup_size: 256
    .name:           _ZN9rocsparseL26coomvn_aos_segmented_loopsILj256EiddddEEvlT0_NS_24const_host_device_scalarIT4_EEPKS1_PKT1_PKT2_PT3_PS1_PS3_21rocsparse_index_base_b
    .private_segment_fixed_size: 0
    .sgpr_count:     47
    .sgpr_spill_count: 0
    .symbol:         _ZN9rocsparseL26coomvn_aos_segmented_loopsILj256EiddddEEvlT0_NS_24const_host_device_scalarIT4_EEPKS1_PKT1_PKT2_PT3_PS1_PS3_21rocsparse_index_base_b.kd
    .uniform_work_group_size: 1
    .uses_dynamic_stack: false
    .vgpr_count:     34
    .vgpr_spill_count: 0
    .wavefront_size: 64
  - .args:
      - .offset:         0
        .size:           4
        .value_kind:     by_value
      - .offset:         8
        .size:           8
        .value_kind:     by_value
      - .actual_access:  read_only
        .address_space:  global
        .offset:         16
        .size:           8
        .value_kind:     global_buffer
      - .actual_access:  read_only
        .address_space:  global
        .offset:         24
        .size:           8
        .value_kind:     global_buffer
      - .address_space:  global
        .offset:         32
        .size:           8
        .value_kind:     global_buffer
      - .offset:         40
        .size:           1
        .value_kind:     by_value
    .group_segment_fixed_size: 3072
    .kernarg_segment_align: 8
    .kernarg_segment_size: 44
    .language:       OpenCL C
    .language_version:
      - 2
      - 0
    .max_flat_workgroup_size: 256
    .name:           _ZN9rocsparseL29coomvn_segmented_loops_reduceILj256EiddEEvT0_NS_24const_host_device_scalarIT2_EEPKS1_PKS3_PT1_b
    .private_segment_fixed_size: 0
    .sgpr_count:     34
    .sgpr_spill_count: 0
    .symbol:         _ZN9rocsparseL29coomvn_segmented_loops_reduceILj256EiddEEvT0_NS_24const_host_device_scalarIT2_EEPKS1_PKS3_PT1_b.kd
    .uniform_work_group_size: 1
    .uses_dynamic_stack: false
    .vgpr_count:     24
    .vgpr_spill_count: 0
    .wavefront_size: 64
  - .args:
      - .offset:         0
        .size:           8
        .value_kind:     by_value
      - .offset:         8
        .size:           8
        .value_kind:     by_value
      - .actual_access:  read_only
        .address_space:  global
        .offset:         16
        .size:           8
        .value_kind:     global_buffer
      - .actual_access:  read_only
        .address_space:  global
        .offset:         24
        .size:           8
        .value_kind:     global_buffer
      - .actual_access:  read_only
        .address_space:  global
        .offset:         32
        .size:           8
        .value_kind:     global_buffer
      - .address_space:  global
        .offset:         40
        .size:           8
        .value_kind:     global_buffer
      - .offset:         48
        .size:           4
        .value_kind:     by_value
      - .offset:         52
        .size:           1
        .value_kind:     by_value
    .group_segment_fixed_size: 4096
    .kernarg_segment_align: 8
    .kernarg_segment_size: 56
    .language:       OpenCL C
    .language_version:
      - 2
      - 0
    .max_flat_workgroup_size: 256
    .name:           _ZN9rocsparseL23coomvn_aos_atomic_loopsILj256ELj1ElddddEEvlNS_24const_host_device_scalarIT5_EEPKT1_PKT2_PKT3_PT4_21rocsparse_index_base_b
    .private_segment_fixed_size: 0
    .sgpr_count:     20
    .sgpr_spill_count: 0
    .symbol:         _ZN9rocsparseL23coomvn_aos_atomic_loopsILj256ELj1ElddddEEvlNS_24const_host_device_scalarIT5_EEPKT1_PKT2_PKT3_PT4_21rocsparse_index_base_b.kd
    .uniform_work_group_size: 1
    .uses_dynamic_stack: false
    .vgpr_count:     15
    .vgpr_spill_count: 0
    .wavefront_size: 64
  - .args:
      - .offset:         0
        .size:           4
        .value_kind:     by_value
      - .offset:         8
        .size:           8
        .value_kind:     by_value
      - .offset:         16
        .size:           8
        .value_kind:     by_value
      - .actual_access:  read_only
        .address_space:  global
        .offset:         24
        .size:           8
        .value_kind:     global_buffer
      - .actual_access:  read_only
        .address_space:  global
        .offset:         32
        .size:           8
        .value_kind:     global_buffer
      - .actual_access:  read_only
        .address_space:  global
        .offset:         40
        .size:           8
        .value_kind:     global_buffer
      - .address_space:  global
        .offset:         48
        .size:           8
        .value_kind:     global_buffer
      - .offset:         56
        .size:           4
        .value_kind:     by_value
      - .offset:         60
        .size:           1
        .value_kind:     by_value
      - .offset:         64
        .size:           4
        .value_kind:     hidden_block_count_x
      - .offset:         68
        .size:           4
        .value_kind:     hidden_block_count_y
      - .offset:         72
        .size:           4
        .value_kind:     hidden_block_count_z
      - .offset:         76
        .size:           2
        .value_kind:     hidden_group_size_x
      - .offset:         78
        .size:           2
        .value_kind:     hidden_group_size_y
      - .offset:         80
        .size:           2
        .value_kind:     hidden_group_size_z
      - .offset:         82
        .size:           2
        .value_kind:     hidden_remainder_x
      - .offset:         84
        .size:           2
        .value_kind:     hidden_remainder_y
      - .offset:         86
        .size:           2
        .value_kind:     hidden_remainder_z
      - .offset:         104
        .size:           8
        .value_kind:     hidden_global_offset_x
      - .offset:         112
        .size:           8
        .value_kind:     hidden_global_offset_y
      - .offset:         120
        .size:           8
        .value_kind:     hidden_global_offset_z
      - .offset:         128
        .size:           2
        .value_kind:     hidden_grid_dims
    .group_segment_fixed_size: 0
    .kernarg_segment_align: 8
    .kernarg_segment_size: 320
    .language:       OpenCL C
    .language_version:
      - 2
      - 0
    .max_flat_workgroup_size: 1024
    .name:           _ZN9rocsparseL17coomvt_aos_kernelILj1024ElddddEEv20rocsparse_operation_lNS_24const_host_device_scalarIT4_EEPKT0_PKT1_PKT2_PT3_21rocsparse_index_base_b
    .private_segment_fixed_size: 0
    .sgpr_count:     22
    .sgpr_spill_count: 0
    .symbol:         _ZN9rocsparseL17coomvt_aos_kernelILj1024ElddddEEv20rocsparse_operation_lNS_24const_host_device_scalarIT4_EEPKT0_PKT1_PKT2_PT3_21rocsparse_index_base_b.kd
    .uniform_work_group_size: 1
    .uses_dynamic_stack: false
    .vgpr_count:     12
    .vgpr_spill_count: 0
    .wavefront_size: 64
  - .args:
      - .offset:         0
        .size:           8
        .value_kind:     by_value
      - .offset:         8
        .size:           8
        .value_kind:     by_value
      - .offset:         16
        .size:           8
        .value_kind:     by_value
      - .actual_access:  read_only
        .address_space:  global
        .offset:         24
        .size:           8
        .value_kind:     global_buffer
      - .actual_access:  read_only
        .address_space:  global
        .offset:         32
        .size:           8
        .value_kind:     global_buffer
      - .actual_access:  read_only
        .address_space:  global
        .offset:         40
        .size:           8
        .value_kind:     global_buffer
      - .address_space:  global
        .offset:         48
        .size:           8
        .value_kind:     global_buffer
      - .actual_access:  write_only
        .address_space:  global
        .offset:         56
        .size:           8
        .value_kind:     global_buffer
      - .actual_access:  write_only
        .address_space:  global
        .offset:         64
        .size:           8
        .value_kind:     global_buffer
      - .offset:         72
        .size:           4
        .value_kind:     by_value
      - .offset:         76
        .size:           1
        .value_kind:     by_value
    .group_segment_fixed_size: 4096
    .kernarg_segment_align: 8
    .kernarg_segment_size: 80
    .language:       OpenCL C
    .language_version:
      - 2
      - 0
    .max_flat_workgroup_size: 256
    .name:           _ZN9rocsparseL26coomvn_aos_segmented_loopsILj256ElddddEEvlT0_NS_24const_host_device_scalarIT4_EEPKS1_PKT1_PKT2_PT3_PS1_PS3_21rocsparse_index_base_b
    .private_segment_fixed_size: 0
    .sgpr_count:     50
    .sgpr_spill_count: 0
    .symbol:         _ZN9rocsparseL26coomvn_aos_segmented_loopsILj256ElddddEEvlT0_NS_24const_host_device_scalarIT4_EEPKS1_PKT1_PKT2_PT3_PS1_PS3_21rocsparse_index_base_b.kd
    .uniform_work_group_size: 1
    .uses_dynamic_stack: false
    .vgpr_count:     34
    .vgpr_spill_count: 0
    .wavefront_size: 64
  - .args:
      - .offset:         0
        .size:           8
        .value_kind:     by_value
      - .offset:         8
        .size:           8
        .value_kind:     by_value
      - .actual_access:  read_only
        .address_space:  global
        .offset:         16
        .size:           8
        .value_kind:     global_buffer
      - .actual_access:  read_only
        .address_space:  global
        .offset:         24
        .size:           8
        .value_kind:     global_buffer
      - .address_space:  global
        .offset:         32
        .size:           8
        .value_kind:     global_buffer
      - .offset:         40
        .size:           1
        .value_kind:     by_value
    .group_segment_fixed_size: 4096
    .kernarg_segment_align: 8
    .kernarg_segment_size: 44
    .language:       OpenCL C
    .language_version:
      - 2
      - 0
    .max_flat_workgroup_size: 256
    .name:           _ZN9rocsparseL29coomvn_segmented_loops_reduceILj256ElddEEvT0_NS_24const_host_device_scalarIT2_EEPKS1_PKS3_PT1_b
    .private_segment_fixed_size: 0
    .sgpr_count:     32
    .sgpr_spill_count: 0
    .symbol:         _ZN9rocsparseL29coomvn_segmented_loops_reduceILj256ElddEEvT0_NS_24const_host_device_scalarIT2_EEPKS1_PKS3_PT1_b.kd
    .uniform_work_group_size: 1
    .uses_dynamic_stack: false
    .vgpr_count:     26
    .vgpr_spill_count: 0
    .wavefront_size: 64
  - .args:
      - .offset:         0
        .size:           8
        .value_kind:     by_value
      - .offset:         8
        .size:           8
        .value_kind:     by_value
      - .actual_access:  read_only
        .address_space:  global
        .offset:         16
        .size:           8
        .value_kind:     global_buffer
      - .actual_access:  read_only
        .address_space:  global
        .offset:         24
        .size:           8
        .value_kind:     global_buffer
      - .actual_access:  read_only
        .address_space:  global
        .offset:         32
        .size:           8
        .value_kind:     global_buffer
      - .address_space:  global
        .offset:         40
        .size:           8
        .value_kind:     global_buffer
      - .offset:         48
        .size:           4
        .value_kind:     by_value
      - .offset:         52
        .size:           1
        .value_kind:     by_value
    .group_segment_fixed_size: 3072
    .kernarg_segment_align: 8
    .kernarg_segment_size: 56
    .language:       OpenCL C
    .language_version:
      - 2
      - 0
    .max_flat_workgroup_size: 256
    .name:           _ZN9rocsparseL23coomvn_aos_atomic_loopsILj256ELj1Ei21rocsparse_complex_numIfES2_S2_S2_EEvlNS_24const_host_device_scalarIT5_EEPKT1_PKT2_PKT3_PT4_21rocsparse_index_base_b
    .private_segment_fixed_size: 0
    .sgpr_count:     16
    .sgpr_spill_count: 0
    .symbol:         _ZN9rocsparseL23coomvn_aos_atomic_loopsILj256ELj1Ei21rocsparse_complex_numIfES2_S2_S2_EEvlNS_24const_host_device_scalarIT5_EEPKT1_PKT2_PKT3_PT4_21rocsparse_index_base_b.kd
    .uniform_work_group_size: 1
    .uses_dynamic_stack: false
    .vgpr_count:     11
    .vgpr_spill_count: 0
    .wavefront_size: 64
  - .args:
      - .offset:         0
        .size:           4
        .value_kind:     by_value
      - .offset:         8
        .size:           8
        .value_kind:     by_value
      - .offset:         16
        .size:           8
        .value_kind:     by_value
      - .actual_access:  read_only
        .address_space:  global
        .offset:         24
        .size:           8
        .value_kind:     global_buffer
      - .actual_access:  read_only
        .address_space:  global
        .offset:         32
        .size:           8
        .value_kind:     global_buffer
      - .actual_access:  read_only
        .address_space:  global
        .offset:         40
        .size:           8
        .value_kind:     global_buffer
      - .address_space:  global
        .offset:         48
        .size:           8
        .value_kind:     global_buffer
      - .offset:         56
        .size:           4
        .value_kind:     by_value
      - .offset:         60
        .size:           1
        .value_kind:     by_value
      - .offset:         64
        .size:           4
        .value_kind:     hidden_block_count_x
      - .offset:         68
        .size:           4
        .value_kind:     hidden_block_count_y
      - .offset:         72
        .size:           4
        .value_kind:     hidden_block_count_z
      - .offset:         76
        .size:           2
        .value_kind:     hidden_group_size_x
      - .offset:         78
        .size:           2
        .value_kind:     hidden_group_size_y
      - .offset:         80
        .size:           2
        .value_kind:     hidden_group_size_z
      - .offset:         82
        .size:           2
        .value_kind:     hidden_remainder_x
      - .offset:         84
        .size:           2
        .value_kind:     hidden_remainder_y
      - .offset:         86
        .size:           2
        .value_kind:     hidden_remainder_z
      - .offset:         104
        .size:           8
        .value_kind:     hidden_global_offset_x
      - .offset:         112
        .size:           8
        .value_kind:     hidden_global_offset_y
      - .offset:         120
        .size:           8
        .value_kind:     hidden_global_offset_z
      - .offset:         128
        .size:           2
        .value_kind:     hidden_grid_dims
    .group_segment_fixed_size: 0
    .kernarg_segment_align: 8
    .kernarg_segment_size: 320
    .language:       OpenCL C
    .language_version:
      - 2
      - 0
    .max_flat_workgroup_size: 1024
    .name:           _ZN9rocsparseL17coomvt_aos_kernelILj1024Ei21rocsparse_complex_numIfES2_S2_S2_EEv20rocsparse_operation_lNS_24const_host_device_scalarIT4_EEPKT0_PKT1_PKT2_PT3_21rocsparse_index_base_b
    .private_segment_fixed_size: 0
    .sgpr_count:     20
    .sgpr_spill_count: 0
    .symbol:         _ZN9rocsparseL17coomvt_aos_kernelILj1024Ei21rocsparse_complex_numIfES2_S2_S2_EEv20rocsparse_operation_lNS_24const_host_device_scalarIT4_EEPKT0_PKT1_PKT2_PT3_21rocsparse_index_base_b.kd
    .uniform_work_group_size: 1
    .uses_dynamic_stack: false
    .vgpr_count:     13
    .vgpr_spill_count: 0
    .wavefront_size: 64
  - .args:
      - .offset:         0
        .size:           8
        .value_kind:     by_value
      - .offset:         8
        .size:           4
        .value_kind:     by_value
      - .offset:         16
        .size:           8
        .value_kind:     by_value
      - .actual_access:  read_only
        .address_space:  global
        .offset:         24
        .size:           8
        .value_kind:     global_buffer
      - .actual_access:  read_only
        .address_space:  global
        .offset:         32
        .size:           8
        .value_kind:     global_buffer
      - .actual_access:  read_only
        .address_space:  global
        .offset:         40
        .size:           8
        .value_kind:     global_buffer
      - .address_space:  global
        .offset:         48
        .size:           8
        .value_kind:     global_buffer
      - .actual_access:  write_only
        .address_space:  global
        .offset:         56
        .size:           8
        .value_kind:     global_buffer
      - .actual_access:  write_only
        .address_space:  global
        .offset:         64
        .size:           8
        .value_kind:     global_buffer
      - .offset:         72
        .size:           4
        .value_kind:     by_value
      - .offset:         76
        .size:           1
        .value_kind:     by_value
    .group_segment_fixed_size: 3072
    .kernarg_segment_align: 8
    .kernarg_segment_size: 80
    .language:       OpenCL C
    .language_version:
      - 2
      - 0
    .max_flat_workgroup_size: 256
    .name:           _ZN9rocsparseL26coomvn_aos_segmented_loopsILj256Ei21rocsparse_complex_numIfES2_S2_S2_EEvlT0_NS_24const_host_device_scalarIT4_EEPKS3_PKT1_PKT2_PT3_PS3_PS5_21rocsparse_index_base_b
    .private_segment_fixed_size: 0
    .sgpr_count:     47
    .sgpr_spill_count: 0
    .symbol:         _ZN9rocsparseL26coomvn_aos_segmented_loopsILj256Ei21rocsparse_complex_numIfES2_S2_S2_EEvlT0_NS_24const_host_device_scalarIT4_EEPKS3_PKT1_PKT2_PT3_PS3_PS5_21rocsparse_index_base_b.kd
    .uniform_work_group_size: 1
    .uses_dynamic_stack: false
    .vgpr_count:     31
    .vgpr_spill_count: 0
    .wavefront_size: 64
  - .args:
      - .offset:         0
        .size:           4
        .value_kind:     by_value
      - .offset:         8
        .size:           8
        .value_kind:     by_value
      - .actual_access:  read_only
        .address_space:  global
        .offset:         16
        .size:           8
        .value_kind:     global_buffer
      - .actual_access:  read_only
        .address_space:  global
        .offset:         24
        .size:           8
        .value_kind:     global_buffer
      - .address_space:  global
        .offset:         32
        .size:           8
        .value_kind:     global_buffer
      - .offset:         40
        .size:           1
        .value_kind:     by_value
    .group_segment_fixed_size: 3072
    .kernarg_segment_align: 8
    .kernarg_segment_size: 44
    .language:       OpenCL C
    .language_version:
      - 2
      - 0
    .max_flat_workgroup_size: 256
    .name:           _ZN9rocsparseL29coomvn_segmented_loops_reduceILj256Ei21rocsparse_complex_numIfES2_EEvT0_NS_24const_host_device_scalarIT2_EEPKS3_PKS5_PT1_b
    .private_segment_fixed_size: 0
    .sgpr_count:     34
    .sgpr_spill_count: 0
    .symbol:         _ZN9rocsparseL29coomvn_segmented_loops_reduceILj256Ei21rocsparse_complex_numIfES2_EEvT0_NS_24const_host_device_scalarIT2_EEPKS3_PKS5_PT1_b.kd
    .uniform_work_group_size: 1
    .uses_dynamic_stack: false
    .vgpr_count:     24
    .vgpr_spill_count: 0
    .wavefront_size: 64
  - .args:
      - .offset:         0
        .size:           8
        .value_kind:     by_value
      - .offset:         8
        .size:           8
        .value_kind:     by_value
      - .actual_access:  read_only
        .address_space:  global
        .offset:         16
        .size:           8
        .value_kind:     global_buffer
      - .actual_access:  read_only
        .address_space:  global
        .offset:         24
        .size:           8
        .value_kind:     global_buffer
      - .actual_access:  read_only
        .address_space:  global
        .offset:         32
        .size:           8
        .value_kind:     global_buffer
      - .address_space:  global
        .offset:         40
        .size:           8
        .value_kind:     global_buffer
      - .offset:         48
        .size:           4
        .value_kind:     by_value
      - .offset:         52
        .size:           1
        .value_kind:     by_value
    .group_segment_fixed_size: 4096
    .kernarg_segment_align: 8
    .kernarg_segment_size: 56
    .language:       OpenCL C
    .language_version:
      - 2
      - 0
    .max_flat_workgroup_size: 256
    .name:           _ZN9rocsparseL23coomvn_aos_atomic_loopsILj256ELj1El21rocsparse_complex_numIfES2_S2_S2_EEvlNS_24const_host_device_scalarIT5_EEPKT1_PKT2_PKT3_PT4_21rocsparse_index_base_b
    .private_segment_fixed_size: 0
    .sgpr_count:     16
    .sgpr_spill_count: 0
    .symbol:         _ZN9rocsparseL23coomvn_aos_atomic_loopsILj256ELj1El21rocsparse_complex_numIfES2_S2_S2_EEvlNS_24const_host_device_scalarIT5_EEPKT1_PKT2_PKT3_PT4_21rocsparse_index_base_b.kd
    .uniform_work_group_size: 1
    .uses_dynamic_stack: false
    .vgpr_count:     12
    .vgpr_spill_count: 0
    .wavefront_size: 64
  - .args:
      - .offset:         0
        .size:           4
        .value_kind:     by_value
      - .offset:         8
        .size:           8
        .value_kind:     by_value
      - .offset:         16
        .size:           8
        .value_kind:     by_value
      - .actual_access:  read_only
        .address_space:  global
        .offset:         24
        .size:           8
        .value_kind:     global_buffer
      - .actual_access:  read_only
        .address_space:  global
        .offset:         32
        .size:           8
        .value_kind:     global_buffer
      - .actual_access:  read_only
        .address_space:  global
        .offset:         40
        .size:           8
        .value_kind:     global_buffer
      - .address_space:  global
        .offset:         48
        .size:           8
        .value_kind:     global_buffer
      - .offset:         56
        .size:           4
        .value_kind:     by_value
      - .offset:         60
        .size:           1
        .value_kind:     by_value
      - .offset:         64
        .size:           4
        .value_kind:     hidden_block_count_x
      - .offset:         68
        .size:           4
        .value_kind:     hidden_block_count_y
      - .offset:         72
        .size:           4
        .value_kind:     hidden_block_count_z
      - .offset:         76
        .size:           2
        .value_kind:     hidden_group_size_x
      - .offset:         78
        .size:           2
        .value_kind:     hidden_group_size_y
      - .offset:         80
        .size:           2
        .value_kind:     hidden_group_size_z
      - .offset:         82
        .size:           2
        .value_kind:     hidden_remainder_x
      - .offset:         84
        .size:           2
        .value_kind:     hidden_remainder_y
      - .offset:         86
        .size:           2
        .value_kind:     hidden_remainder_z
      - .offset:         104
        .size:           8
        .value_kind:     hidden_global_offset_x
      - .offset:         112
        .size:           8
        .value_kind:     hidden_global_offset_y
      - .offset:         120
        .size:           8
        .value_kind:     hidden_global_offset_z
      - .offset:         128
        .size:           2
        .value_kind:     hidden_grid_dims
    .group_segment_fixed_size: 0
    .kernarg_segment_align: 8
    .kernarg_segment_size: 320
    .language:       OpenCL C
    .language_version:
      - 2
      - 0
    .max_flat_workgroup_size: 1024
    .name:           _ZN9rocsparseL17coomvt_aos_kernelILj1024El21rocsparse_complex_numIfES2_S2_S2_EEv20rocsparse_operation_lNS_24const_host_device_scalarIT4_EEPKT0_PKT1_PKT2_PT3_21rocsparse_index_base_b
    .private_segment_fixed_size: 0
    .sgpr_count:     20
    .sgpr_spill_count: 0
    .symbol:         _ZN9rocsparseL17coomvt_aos_kernelILj1024El21rocsparse_complex_numIfES2_S2_S2_EEv20rocsparse_operation_lNS_24const_host_device_scalarIT4_EEPKT0_PKT1_PKT2_PT3_21rocsparse_index_base_b.kd
    .uniform_work_group_size: 1
    .uses_dynamic_stack: false
    .vgpr_count:     13
    .vgpr_spill_count: 0
    .wavefront_size: 64
  - .args:
      - .offset:         0
        .size:           8
        .value_kind:     by_value
      - .offset:         8
        .size:           8
        .value_kind:     by_value
      - .offset:         16
        .size:           8
        .value_kind:     by_value
      - .actual_access:  read_only
        .address_space:  global
        .offset:         24
        .size:           8
        .value_kind:     global_buffer
      - .actual_access:  read_only
        .address_space:  global
        .offset:         32
        .size:           8
        .value_kind:     global_buffer
      - .actual_access:  read_only
        .address_space:  global
        .offset:         40
        .size:           8
        .value_kind:     global_buffer
      - .address_space:  global
        .offset:         48
        .size:           8
        .value_kind:     global_buffer
      - .actual_access:  write_only
        .address_space:  global
        .offset:         56
        .size:           8
        .value_kind:     global_buffer
      - .actual_access:  write_only
        .address_space:  global
        .offset:         64
        .size:           8
        .value_kind:     global_buffer
      - .offset:         72
        .size:           4
        .value_kind:     by_value
      - .offset:         76
        .size:           1
        .value_kind:     by_value
    .group_segment_fixed_size: 4096
    .kernarg_segment_align: 8
    .kernarg_segment_size: 80
    .language:       OpenCL C
    .language_version:
      - 2
      - 0
    .max_flat_workgroup_size: 256
    .name:           _ZN9rocsparseL26coomvn_aos_segmented_loopsILj256El21rocsparse_complex_numIfES2_S2_S2_EEvlT0_NS_24const_host_device_scalarIT4_EEPKS3_PKT1_PKT2_PT3_PS3_PS5_21rocsparse_index_base_b
    .private_segment_fixed_size: 0
    .sgpr_count:     50
    .sgpr_spill_count: 0
    .symbol:         _ZN9rocsparseL26coomvn_aos_segmented_loopsILj256El21rocsparse_complex_numIfES2_S2_S2_EEvlT0_NS_24const_host_device_scalarIT4_EEPKS3_PKT1_PKT2_PT3_PS3_PS5_21rocsparse_index_base_b.kd
    .uniform_work_group_size: 1
    .uses_dynamic_stack: false
    .vgpr_count:     35
    .vgpr_spill_count: 0
    .wavefront_size: 64
  - .args:
      - .offset:         0
        .size:           8
        .value_kind:     by_value
      - .offset:         8
        .size:           8
        .value_kind:     by_value
      - .actual_access:  read_only
        .address_space:  global
        .offset:         16
        .size:           8
        .value_kind:     global_buffer
      - .actual_access:  read_only
        .address_space:  global
        .offset:         24
        .size:           8
        .value_kind:     global_buffer
      - .address_space:  global
        .offset:         32
        .size:           8
        .value_kind:     global_buffer
      - .offset:         40
        .size:           1
        .value_kind:     by_value
    .group_segment_fixed_size: 4096
    .kernarg_segment_align: 8
    .kernarg_segment_size: 44
    .language:       OpenCL C
    .language_version:
      - 2
      - 0
    .max_flat_workgroup_size: 256
    .name:           _ZN9rocsparseL29coomvn_segmented_loops_reduceILj256El21rocsparse_complex_numIfES2_EEvT0_NS_24const_host_device_scalarIT2_EEPKS3_PKS5_PT1_b
    .private_segment_fixed_size: 0
    .sgpr_count:     32
    .sgpr_spill_count: 0
    .symbol:         _ZN9rocsparseL29coomvn_segmented_loops_reduceILj256El21rocsparse_complex_numIfES2_EEvT0_NS_24const_host_device_scalarIT2_EEPKS3_PKS5_PT1_b.kd
    .uniform_work_group_size: 1
    .uses_dynamic_stack: false
    .vgpr_count:     29
    .vgpr_spill_count: 0
    .wavefront_size: 64
  - .args:
      - .offset:         0
        .size:           8
        .value_kind:     by_value
      - .offset:         8
        .size:           16
        .value_kind:     by_value
      - .actual_access:  read_only
        .address_space:  global
        .offset:         24
        .size:           8
        .value_kind:     global_buffer
      - .actual_access:  read_only
        .address_space:  global
        .offset:         32
        .size:           8
        .value_kind:     global_buffer
      - .actual_access:  read_only
        .address_space:  global
        .offset:         40
        .size:           8
        .value_kind:     global_buffer
      - .address_space:  global
        .offset:         48
        .size:           8
        .value_kind:     global_buffer
      - .offset:         56
        .size:           4
        .value_kind:     by_value
      - .offset:         60
        .size:           1
        .value_kind:     by_value
    .group_segment_fixed_size: 5120
    .kernarg_segment_align: 8
    .kernarg_segment_size: 64
    .language:       OpenCL C
    .language_version:
      - 2
      - 0
    .max_flat_workgroup_size: 256
    .name:           _ZN9rocsparseL23coomvn_aos_atomic_loopsILj256ELj1Ei21rocsparse_complex_numIdES2_S2_S2_EEvlNS_24const_host_device_scalarIT5_EEPKT1_PKT2_PKT3_PT4_21rocsparse_index_base_b
    .private_segment_fixed_size: 0
    .sgpr_count:     16
    .sgpr_spill_count: 0
    .symbol:         _ZN9rocsparseL23coomvn_aos_atomic_loopsILj256ELj1Ei21rocsparse_complex_numIdES2_S2_S2_EEvlNS_24const_host_device_scalarIT5_EEPKT1_PKT2_PKT3_PT4_21rocsparse_index_base_b.kd
    .uniform_work_group_size: 1
    .uses_dynamic_stack: false
    .vgpr_count:     18
    .vgpr_spill_count: 0
    .wavefront_size: 64
  - .args:
      - .offset:         0
        .size:           4
        .value_kind:     by_value
      - .offset:         8
        .size:           8
        .value_kind:     by_value
      - .offset:         16
        .size:           16
        .value_kind:     by_value
      - .actual_access:  read_only
        .address_space:  global
        .offset:         32
        .size:           8
        .value_kind:     global_buffer
      - .actual_access:  read_only
        .address_space:  global
        .offset:         40
        .size:           8
        .value_kind:     global_buffer
      - .actual_access:  read_only
        .address_space:  global
        .offset:         48
        .size:           8
        .value_kind:     global_buffer
      - .address_space:  global
        .offset:         56
        .size:           8
        .value_kind:     global_buffer
      - .offset:         64
        .size:           4
        .value_kind:     by_value
      - .offset:         68
        .size:           1
        .value_kind:     by_value
      - .offset:         72
        .size:           4
        .value_kind:     hidden_block_count_x
      - .offset:         76
        .size:           4
        .value_kind:     hidden_block_count_y
      - .offset:         80
        .size:           4
        .value_kind:     hidden_block_count_z
      - .offset:         84
        .size:           2
        .value_kind:     hidden_group_size_x
      - .offset:         86
        .size:           2
        .value_kind:     hidden_group_size_y
      - .offset:         88
        .size:           2
        .value_kind:     hidden_group_size_z
      - .offset:         90
        .size:           2
        .value_kind:     hidden_remainder_x
      - .offset:         92
        .size:           2
        .value_kind:     hidden_remainder_y
      - .offset:         94
        .size:           2
        .value_kind:     hidden_remainder_z
      - .offset:         112
        .size:           8
        .value_kind:     hidden_global_offset_x
      - .offset:         120
        .size:           8
        .value_kind:     hidden_global_offset_y
      - .offset:         128
        .size:           8
        .value_kind:     hidden_global_offset_z
      - .offset:         136
        .size:           2
        .value_kind:     hidden_grid_dims
    .group_segment_fixed_size: 0
    .kernarg_segment_align: 8
    .kernarg_segment_size: 328
    .language:       OpenCL C
    .language_version:
      - 2
      - 0
    .max_flat_workgroup_size: 1024
    .name:           _ZN9rocsparseL17coomvt_aos_kernelILj1024Ei21rocsparse_complex_numIdES2_S2_S2_EEv20rocsparse_operation_lNS_24const_host_device_scalarIT4_EEPKT0_PKT1_PKT2_PT3_21rocsparse_index_base_b
    .private_segment_fixed_size: 0
    .sgpr_count:     20
    .sgpr_spill_count: 0
    .symbol:         _ZN9rocsparseL17coomvt_aos_kernelILj1024Ei21rocsparse_complex_numIdES2_S2_S2_EEv20rocsparse_operation_lNS_24const_host_device_scalarIT4_EEPKT0_PKT1_PKT2_PT3_21rocsparse_index_base_b.kd
    .uniform_work_group_size: 1
    .uses_dynamic_stack: false
    .vgpr_count:     17
    .vgpr_spill_count: 0
    .wavefront_size: 64
  - .args:
      - .offset:         0
        .size:           8
        .value_kind:     by_value
      - .offset:         8
        .size:           4
        .value_kind:     by_value
      - .offset:         16
        .size:           16
        .value_kind:     by_value
      - .actual_access:  read_only
        .address_space:  global
        .offset:         32
        .size:           8
        .value_kind:     global_buffer
      - .actual_access:  read_only
        .address_space:  global
        .offset:         40
        .size:           8
        .value_kind:     global_buffer
      - .actual_access:  read_only
        .address_space:  global
        .offset:         48
        .size:           8
        .value_kind:     global_buffer
      - .address_space:  global
        .offset:         56
        .size:           8
        .value_kind:     global_buffer
      - .actual_access:  write_only
        .address_space:  global
        .offset:         64
        .size:           8
        .value_kind:     global_buffer
      - .actual_access:  write_only
        .address_space:  global
        .offset:         72
        .size:           8
        .value_kind:     global_buffer
      - .offset:         80
        .size:           4
        .value_kind:     by_value
      - .offset:         84
        .size:           1
        .value_kind:     by_value
    .group_segment_fixed_size: 5120
    .kernarg_segment_align: 8
    .kernarg_segment_size: 88
    .language:       OpenCL C
    .language_version:
      - 2
      - 0
    .max_flat_workgroup_size: 256
    .name:           _ZN9rocsparseL26coomvn_aos_segmented_loopsILj256Ei21rocsparse_complex_numIdES2_S2_S2_EEvlT0_NS_24const_host_device_scalarIT4_EEPKS3_PKT1_PKT2_PT3_PS3_PS5_21rocsparse_index_base_b
    .private_segment_fixed_size: 0
    .sgpr_count:     47
    .sgpr_spill_count: 0
    .symbol:         _ZN9rocsparseL26coomvn_aos_segmented_loopsILj256Ei21rocsparse_complex_numIdES2_S2_S2_EEvlT0_NS_24const_host_device_scalarIT4_EEPKS3_PKT1_PKT2_PT3_PS3_PS5_21rocsparse_index_base_b.kd
    .uniform_work_group_size: 1
    .uses_dynamic_stack: false
    .vgpr_count:     38
    .vgpr_spill_count: 0
    .wavefront_size: 64
  - .args:
      - .offset:         0
        .size:           4
        .value_kind:     by_value
      - .offset:         8
        .size:           16
        .value_kind:     by_value
      - .actual_access:  read_only
        .address_space:  global
        .offset:         24
        .size:           8
        .value_kind:     global_buffer
      - .actual_access:  read_only
        .address_space:  global
        .offset:         32
        .size:           8
        .value_kind:     global_buffer
      - .address_space:  global
        .offset:         40
        .size:           8
        .value_kind:     global_buffer
      - .offset:         48
        .size:           1
        .value_kind:     by_value
    .group_segment_fixed_size: 5120
    .kernarg_segment_align: 8
    .kernarg_segment_size: 52
    .language:       OpenCL C
    .language_version:
      - 2
      - 0
    .max_flat_workgroup_size: 256
    .name:           _ZN9rocsparseL29coomvn_segmented_loops_reduceILj256Ei21rocsparse_complex_numIdES2_EEvT0_NS_24const_host_device_scalarIT2_EEPKS3_PKS5_PT1_b
    .private_segment_fixed_size: 0
    .sgpr_count:     34
    .sgpr_spill_count: 0
    .symbol:         _ZN9rocsparseL29coomvn_segmented_loops_reduceILj256Ei21rocsparse_complex_numIdES2_EEvT0_NS_24const_host_device_scalarIT2_EEPKS3_PKS5_PT1_b.kd
    .uniform_work_group_size: 1
    .uses_dynamic_stack: false
    .vgpr_count:     28
    .vgpr_spill_count: 0
    .wavefront_size: 64
  - .args:
      - .offset:         0
        .size:           8
        .value_kind:     by_value
      - .offset:         8
        .size:           16
        .value_kind:     by_value
      - .actual_access:  read_only
        .address_space:  global
        .offset:         24
        .size:           8
        .value_kind:     global_buffer
      - .actual_access:  read_only
        .address_space:  global
        .offset:         32
        .size:           8
        .value_kind:     global_buffer
      - .actual_access:  read_only
        .address_space:  global
        .offset:         40
        .size:           8
        .value_kind:     global_buffer
      - .address_space:  global
        .offset:         48
        .size:           8
        .value_kind:     global_buffer
      - .offset:         56
        .size:           4
        .value_kind:     by_value
      - .offset:         60
        .size:           1
        .value_kind:     by_value
    .group_segment_fixed_size: 6144
    .kernarg_segment_align: 8
    .kernarg_segment_size: 64
    .language:       OpenCL C
    .language_version:
      - 2
      - 0
    .max_flat_workgroup_size: 256
    .name:           _ZN9rocsparseL23coomvn_aos_atomic_loopsILj256ELj1El21rocsparse_complex_numIdES2_S2_S2_EEvlNS_24const_host_device_scalarIT5_EEPKT1_PKT2_PKT3_PT4_21rocsparse_index_base_b
    .private_segment_fixed_size: 0
    .sgpr_count:     16
    .sgpr_spill_count: 0
    .symbol:         _ZN9rocsparseL23coomvn_aos_atomic_loopsILj256ELj1El21rocsparse_complex_numIdES2_S2_S2_EEvlNS_24const_host_device_scalarIT5_EEPKT1_PKT2_PKT3_PT4_21rocsparse_index_base_b.kd
    .uniform_work_group_size: 1
    .uses_dynamic_stack: false
    .vgpr_count:     19
    .vgpr_spill_count: 0
    .wavefront_size: 64
  - .args:
      - .offset:         0
        .size:           4
        .value_kind:     by_value
      - .offset:         8
        .size:           8
        .value_kind:     by_value
      - .offset:         16
        .size:           16
        .value_kind:     by_value
      - .actual_access:  read_only
        .address_space:  global
        .offset:         32
        .size:           8
        .value_kind:     global_buffer
      - .actual_access:  read_only
        .address_space:  global
        .offset:         40
        .size:           8
        .value_kind:     global_buffer
      - .actual_access:  read_only
        .address_space:  global
        .offset:         48
        .size:           8
        .value_kind:     global_buffer
      - .address_space:  global
        .offset:         56
        .size:           8
        .value_kind:     global_buffer
      - .offset:         64
        .size:           4
        .value_kind:     by_value
      - .offset:         68
        .size:           1
        .value_kind:     by_value
      - .offset:         72
        .size:           4
        .value_kind:     hidden_block_count_x
      - .offset:         76
        .size:           4
        .value_kind:     hidden_block_count_y
      - .offset:         80
        .size:           4
        .value_kind:     hidden_block_count_z
      - .offset:         84
        .size:           2
        .value_kind:     hidden_group_size_x
      - .offset:         86
        .size:           2
        .value_kind:     hidden_group_size_y
      - .offset:         88
        .size:           2
        .value_kind:     hidden_group_size_z
      - .offset:         90
        .size:           2
        .value_kind:     hidden_remainder_x
      - .offset:         92
        .size:           2
        .value_kind:     hidden_remainder_y
      - .offset:         94
        .size:           2
        .value_kind:     hidden_remainder_z
      - .offset:         112
        .size:           8
        .value_kind:     hidden_global_offset_x
      - .offset:         120
        .size:           8
        .value_kind:     hidden_global_offset_y
      - .offset:         128
        .size:           8
        .value_kind:     hidden_global_offset_z
      - .offset:         136
        .size:           2
        .value_kind:     hidden_grid_dims
    .group_segment_fixed_size: 0
    .kernarg_segment_align: 8
    .kernarg_segment_size: 328
    .language:       OpenCL C
    .language_version:
      - 2
      - 0
    .max_flat_workgroup_size: 1024
    .name:           _ZN9rocsparseL17coomvt_aos_kernelILj1024El21rocsparse_complex_numIdES2_S2_S2_EEv20rocsparse_operation_lNS_24const_host_device_scalarIT4_EEPKT0_PKT1_PKT2_PT3_21rocsparse_index_base_b
    .private_segment_fixed_size: 0
    .sgpr_count:     20
    .sgpr_spill_count: 0
    .symbol:         _ZN9rocsparseL17coomvt_aos_kernelILj1024El21rocsparse_complex_numIdES2_S2_S2_EEv20rocsparse_operation_lNS_24const_host_device_scalarIT4_EEPKT0_PKT1_PKT2_PT3_21rocsparse_index_base_b.kd
    .uniform_work_group_size: 1
    .uses_dynamic_stack: false
    .vgpr_count:     17
    .vgpr_spill_count: 0
    .wavefront_size: 64
  - .args:
      - .offset:         0
        .size:           8
        .value_kind:     by_value
      - .offset:         8
        .size:           8
        .value_kind:     by_value
      - .offset:         16
        .size:           16
        .value_kind:     by_value
      - .actual_access:  read_only
        .address_space:  global
        .offset:         32
        .size:           8
        .value_kind:     global_buffer
      - .actual_access:  read_only
        .address_space:  global
        .offset:         40
        .size:           8
        .value_kind:     global_buffer
      - .actual_access:  read_only
        .address_space:  global
        .offset:         48
        .size:           8
        .value_kind:     global_buffer
      - .address_space:  global
        .offset:         56
        .size:           8
        .value_kind:     global_buffer
      - .actual_access:  write_only
        .address_space:  global
        .offset:         64
        .size:           8
        .value_kind:     global_buffer
      - .actual_access:  write_only
        .address_space:  global
        .offset:         72
        .size:           8
        .value_kind:     global_buffer
      - .offset:         80
        .size:           4
        .value_kind:     by_value
      - .offset:         84
        .size:           1
        .value_kind:     by_value
    .group_segment_fixed_size: 6144
    .kernarg_segment_align: 8
    .kernarg_segment_size: 88
    .language:       OpenCL C
    .language_version:
      - 2
      - 0
    .max_flat_workgroup_size: 256
    .name:           _ZN9rocsparseL26coomvn_aos_segmented_loopsILj256El21rocsparse_complex_numIdES2_S2_S2_EEvlT0_NS_24const_host_device_scalarIT4_EEPKS3_PKT1_PKT2_PT3_PS3_PS5_21rocsparse_index_base_b
    .private_segment_fixed_size: 0
    .sgpr_count:     51
    .sgpr_spill_count: 0
    .symbol:         _ZN9rocsparseL26coomvn_aos_segmented_loopsILj256El21rocsparse_complex_numIdES2_S2_S2_EEvlT0_NS_24const_host_device_scalarIT4_EEPKS3_PKT1_PKT2_PT3_PS3_PS5_21rocsparse_index_base_b.kd
    .uniform_work_group_size: 1
    .uses_dynamic_stack: false
    .vgpr_count:     38
    .vgpr_spill_count: 0
    .wavefront_size: 64
  - .args:
      - .offset:         0
        .size:           8
        .value_kind:     by_value
      - .offset:         8
        .size:           16
        .value_kind:     by_value
      - .actual_access:  read_only
        .address_space:  global
        .offset:         24
        .size:           8
        .value_kind:     global_buffer
      - .actual_access:  read_only
        .address_space:  global
        .offset:         32
        .size:           8
        .value_kind:     global_buffer
      - .address_space:  global
        .offset:         40
        .size:           8
        .value_kind:     global_buffer
      - .offset:         48
        .size:           1
        .value_kind:     by_value
    .group_segment_fixed_size: 6144
    .kernarg_segment_align: 8
    .kernarg_segment_size: 52
    .language:       OpenCL C
    .language_version:
      - 2
      - 0
    .max_flat_workgroup_size: 256
    .name:           _ZN9rocsparseL29coomvn_segmented_loops_reduceILj256El21rocsparse_complex_numIdES2_EEvT0_NS_24const_host_device_scalarIT2_EEPKS3_PKS5_PT1_b
    .private_segment_fixed_size: 0
    .sgpr_count:     32
    .sgpr_spill_count: 0
    .symbol:         _ZN9rocsparseL29coomvn_segmented_loops_reduceILj256El21rocsparse_complex_numIdES2_EEvT0_NS_24const_host_device_scalarIT2_EEPKS3_PKS5_PT1_b.kd
    .uniform_work_group_size: 1
    .uses_dynamic_stack: false
    .vgpr_count:     32
    .vgpr_spill_count: 0
    .wavefront_size: 64
  - .args:
      - .offset:         0
        .size:           8
        .value_kind:     by_value
      - .offset:         8
        .size:           8
        .value_kind:     by_value
      - .actual_access:  read_only
        .address_space:  global
        .offset:         16
        .size:           8
        .value_kind:     global_buffer
      - .actual_access:  read_only
        .address_space:  global
        .offset:         24
        .size:           8
        .value_kind:     global_buffer
      - .actual_access:  read_only
        .address_space:  global
        .offset:         32
        .size:           8
        .value_kind:     global_buffer
      - .address_space:  global
        .offset:         40
        .size:           8
        .value_kind:     global_buffer
      - .offset:         48
        .size:           4
        .value_kind:     by_value
      - .offset:         52
        .size:           1
        .value_kind:     by_value
    .group_segment_fixed_size: 2048
    .kernarg_segment_align: 8
    .kernarg_segment_size: 56
    .language:       OpenCL C
    .language_version:
      - 2
      - 0
    .max_flat_workgroup_size: 256
    .name:           _ZN9rocsparseL23coomvn_aos_atomic_loopsILj256ELj1EiaaiiEEvlNS_24const_host_device_scalarIT5_EEPKT1_PKT2_PKT3_PT4_21rocsparse_index_base_b
    .private_segment_fixed_size: 0
    .sgpr_count:     20
    .sgpr_spill_count: 0
    .symbol:         _ZN9rocsparseL23coomvn_aos_atomic_loopsILj256ELj1EiaaiiEEvlNS_24const_host_device_scalarIT5_EEPKT1_PKT2_PKT3_PT4_21rocsparse_index_base_b.kd
    .uniform_work_group_size: 1
    .uses_dynamic_stack: false
    .vgpr_count:     7
    .vgpr_spill_count: 0
    .wavefront_size: 64
  - .args:
      - .offset:         0
        .size:           4
        .value_kind:     by_value
      - .offset:         8
        .size:           8
        .value_kind:     by_value
      - .offset:         16
        .size:           8
        .value_kind:     by_value
      - .actual_access:  read_only
        .address_space:  global
        .offset:         24
        .size:           8
        .value_kind:     global_buffer
      - .actual_access:  read_only
        .address_space:  global
        .offset:         32
        .size:           8
        .value_kind:     global_buffer
      - .actual_access:  read_only
        .address_space:  global
        .offset:         40
        .size:           8
        .value_kind:     global_buffer
      - .address_space:  global
        .offset:         48
        .size:           8
        .value_kind:     global_buffer
      - .offset:         56
        .size:           4
        .value_kind:     by_value
      - .offset:         60
        .size:           1
        .value_kind:     by_value
      - .offset:         64
        .size:           4
        .value_kind:     hidden_block_count_x
      - .offset:         68
        .size:           4
        .value_kind:     hidden_block_count_y
      - .offset:         72
        .size:           4
        .value_kind:     hidden_block_count_z
      - .offset:         76
        .size:           2
        .value_kind:     hidden_group_size_x
      - .offset:         78
        .size:           2
        .value_kind:     hidden_group_size_y
      - .offset:         80
        .size:           2
        .value_kind:     hidden_group_size_z
      - .offset:         82
        .size:           2
        .value_kind:     hidden_remainder_x
      - .offset:         84
        .size:           2
        .value_kind:     hidden_remainder_y
      - .offset:         86
        .size:           2
        .value_kind:     hidden_remainder_z
      - .offset:         104
        .size:           8
        .value_kind:     hidden_global_offset_x
      - .offset:         112
        .size:           8
        .value_kind:     hidden_global_offset_y
      - .offset:         120
        .size:           8
        .value_kind:     hidden_global_offset_z
      - .offset:         128
        .size:           2
        .value_kind:     hidden_grid_dims
    .group_segment_fixed_size: 0
    .kernarg_segment_align: 8
    .kernarg_segment_size: 320
    .language:       OpenCL C
    .language_version:
      - 2
      - 0
    .max_flat_workgroup_size: 1024
    .name:           _ZN9rocsparseL17coomvt_aos_kernelILj1024EiaaiiEEv20rocsparse_operation_lNS_24const_host_device_scalarIT4_EEPKT0_PKT1_PKT2_PT3_21rocsparse_index_base_b
    .private_segment_fixed_size: 0
    .sgpr_count:     22
    .sgpr_spill_count: 0
    .symbol:         _ZN9rocsparseL17coomvt_aos_kernelILj1024EiaaiiEEv20rocsparse_operation_lNS_24const_host_device_scalarIT4_EEPKT0_PKT1_PKT2_PT3_21rocsparse_index_base_b.kd
    .uniform_work_group_size: 1
    .uses_dynamic_stack: false
    .vgpr_count:     6
    .vgpr_spill_count: 0
    .wavefront_size: 64
  - .args:
      - .offset:         0
        .size:           8
        .value_kind:     by_value
      - .offset:         8
        .size:           4
        .value_kind:     by_value
      - .offset:         16
        .size:           8
        .value_kind:     by_value
      - .actual_access:  read_only
        .address_space:  global
        .offset:         24
        .size:           8
        .value_kind:     global_buffer
      - .actual_access:  read_only
        .address_space:  global
        .offset:         32
        .size:           8
        .value_kind:     global_buffer
      - .actual_access:  read_only
        .address_space:  global
        .offset:         40
        .size:           8
        .value_kind:     global_buffer
      - .address_space:  global
        .offset:         48
        .size:           8
        .value_kind:     global_buffer
      - .actual_access:  write_only
        .address_space:  global
        .offset:         56
        .size:           8
        .value_kind:     global_buffer
      - .actual_access:  write_only
        .address_space:  global
        .offset:         64
        .size:           8
        .value_kind:     global_buffer
      - .offset:         72
        .size:           4
        .value_kind:     by_value
      - .offset:         76
        .size:           1
        .value_kind:     by_value
    .group_segment_fixed_size: 2048
    .kernarg_segment_align: 8
    .kernarg_segment_size: 80
    .language:       OpenCL C
    .language_version:
      - 2
      - 0
    .max_flat_workgroup_size: 256
    .name:           _ZN9rocsparseL26coomvn_aos_segmented_loopsILj256EiaaiiEEvlT0_NS_24const_host_device_scalarIT4_EEPKS1_PKT1_PKT2_PT3_PS1_PS3_21rocsparse_index_base_b
    .private_segment_fixed_size: 0
    .sgpr_count:     50
    .sgpr_spill_count: 0
    .symbol:         _ZN9rocsparseL26coomvn_aos_segmented_loopsILj256EiaaiiEEvlT0_NS_24const_host_device_scalarIT4_EEPKS1_PKT1_PKT2_PT3_PS1_PS3_21rocsparse_index_base_b.kd
    .uniform_work_group_size: 1
    .uses_dynamic_stack: false
    .vgpr_count:     28
    .vgpr_spill_count: 0
    .wavefront_size: 64
  - .args:
      - .offset:         0
        .size:           4
        .value_kind:     by_value
      - .offset:         8
        .size:           8
        .value_kind:     by_value
      - .actual_access:  read_only
        .address_space:  global
        .offset:         16
        .size:           8
        .value_kind:     global_buffer
      - .actual_access:  read_only
        .address_space:  global
        .offset:         24
        .size:           8
        .value_kind:     global_buffer
      - .address_space:  global
        .offset:         32
        .size:           8
        .value_kind:     global_buffer
      - .offset:         40
        .size:           1
        .value_kind:     by_value
    .group_segment_fixed_size: 2048
    .kernarg_segment_align: 8
    .kernarg_segment_size: 44
    .language:       OpenCL C
    .language_version:
      - 2
      - 0
    .max_flat_workgroup_size: 256
    .name:           _ZN9rocsparseL29coomvn_segmented_loops_reduceILj256EiiiEEvT0_NS_24const_host_device_scalarIT2_EEPKS1_PKS3_PT1_b
    .private_segment_fixed_size: 0
    .sgpr_count:     34
    .sgpr_spill_count: 0
    .symbol:         _ZN9rocsparseL29coomvn_segmented_loops_reduceILj256EiiiEEvT0_NS_24const_host_device_scalarIT2_EEPKS1_PKS3_PT1_b.kd
    .uniform_work_group_size: 1
    .uses_dynamic_stack: false
    .vgpr_count:     25
    .vgpr_spill_count: 0
    .wavefront_size: 64
  - .args:
      - .offset:         0
        .size:           8
        .value_kind:     by_value
      - .offset:         8
        .size:           8
        .value_kind:     by_value
      - .actual_access:  read_only
        .address_space:  global
        .offset:         16
        .size:           8
        .value_kind:     global_buffer
      - .actual_access:  read_only
        .address_space:  global
        .offset:         24
        .size:           8
        .value_kind:     global_buffer
      - .actual_access:  read_only
        .address_space:  global
        .offset:         32
        .size:           8
        .value_kind:     global_buffer
      - .address_space:  global
        .offset:         40
        .size:           8
        .value_kind:     global_buffer
      - .offset:         48
        .size:           4
        .value_kind:     by_value
      - .offset:         52
        .size:           1
        .value_kind:     by_value
    .group_segment_fixed_size: 3072
    .kernarg_segment_align: 8
    .kernarg_segment_size: 56
    .language:       OpenCL C
    .language_version:
      - 2
      - 0
    .max_flat_workgroup_size: 256
    .name:           _ZN9rocsparseL23coomvn_aos_atomic_loopsILj256ELj1ElaaiiEEvlNS_24const_host_device_scalarIT5_EEPKT1_PKT2_PKT3_PT4_21rocsparse_index_base_b
    .private_segment_fixed_size: 0
    .sgpr_count:     20
    .sgpr_spill_count: 0
    .symbol:         _ZN9rocsparseL23coomvn_aos_atomic_loopsILj256ELj1ElaaiiEEvlNS_24const_host_device_scalarIT5_EEPKT1_PKT2_PKT3_PT4_21rocsparse_index_base_b.kd
    .uniform_work_group_size: 1
    .uses_dynamic_stack: false
    .vgpr_count:     9
    .vgpr_spill_count: 0
    .wavefront_size: 64
  - .args:
      - .offset:         0
        .size:           4
        .value_kind:     by_value
      - .offset:         8
        .size:           8
        .value_kind:     by_value
      - .offset:         16
        .size:           8
        .value_kind:     by_value
      - .actual_access:  read_only
        .address_space:  global
        .offset:         24
        .size:           8
        .value_kind:     global_buffer
      - .actual_access:  read_only
        .address_space:  global
        .offset:         32
        .size:           8
        .value_kind:     global_buffer
      - .actual_access:  read_only
        .address_space:  global
        .offset:         40
        .size:           8
        .value_kind:     global_buffer
      - .address_space:  global
        .offset:         48
        .size:           8
        .value_kind:     global_buffer
      - .offset:         56
        .size:           4
        .value_kind:     by_value
      - .offset:         60
        .size:           1
        .value_kind:     by_value
      - .offset:         64
        .size:           4
        .value_kind:     hidden_block_count_x
      - .offset:         68
        .size:           4
        .value_kind:     hidden_block_count_y
      - .offset:         72
        .size:           4
        .value_kind:     hidden_block_count_z
      - .offset:         76
        .size:           2
        .value_kind:     hidden_group_size_x
      - .offset:         78
        .size:           2
        .value_kind:     hidden_group_size_y
      - .offset:         80
        .size:           2
        .value_kind:     hidden_group_size_z
      - .offset:         82
        .size:           2
        .value_kind:     hidden_remainder_x
      - .offset:         84
        .size:           2
        .value_kind:     hidden_remainder_y
      - .offset:         86
        .size:           2
        .value_kind:     hidden_remainder_z
      - .offset:         104
        .size:           8
        .value_kind:     hidden_global_offset_x
      - .offset:         112
        .size:           8
        .value_kind:     hidden_global_offset_y
      - .offset:         120
        .size:           8
        .value_kind:     hidden_global_offset_z
      - .offset:         128
        .size:           2
        .value_kind:     hidden_grid_dims
    .group_segment_fixed_size: 0
    .kernarg_segment_align: 8
    .kernarg_segment_size: 320
    .language:       OpenCL C
    .language_version:
      - 2
      - 0
    .max_flat_workgroup_size: 1024
    .name:           _ZN9rocsparseL17coomvt_aos_kernelILj1024ElaaiiEEv20rocsparse_operation_lNS_24const_host_device_scalarIT4_EEPKT0_PKT1_PKT2_PT3_21rocsparse_index_base_b
    .private_segment_fixed_size: 0
    .sgpr_count:     22
    .sgpr_spill_count: 0
    .symbol:         _ZN9rocsparseL17coomvt_aos_kernelILj1024ElaaiiEEv20rocsparse_operation_lNS_24const_host_device_scalarIT4_EEPKT0_PKT1_PKT2_PT3_21rocsparse_index_base_b.kd
    .uniform_work_group_size: 1
    .uses_dynamic_stack: false
    .vgpr_count:     8
    .vgpr_spill_count: 0
    .wavefront_size: 64
  - .args:
      - .offset:         0
        .size:           8
        .value_kind:     by_value
      - .offset:         8
        .size:           8
        .value_kind:     by_value
      - .offset:         16
        .size:           8
        .value_kind:     by_value
      - .actual_access:  read_only
        .address_space:  global
        .offset:         24
        .size:           8
        .value_kind:     global_buffer
      - .actual_access:  read_only
        .address_space:  global
        .offset:         32
        .size:           8
        .value_kind:     global_buffer
      - .actual_access:  read_only
        .address_space:  global
        .offset:         40
        .size:           8
        .value_kind:     global_buffer
      - .address_space:  global
        .offset:         48
        .size:           8
        .value_kind:     global_buffer
      - .actual_access:  write_only
        .address_space:  global
        .offset:         56
        .size:           8
        .value_kind:     global_buffer
      - .actual_access:  write_only
        .address_space:  global
        .offset:         64
        .size:           8
        .value_kind:     global_buffer
      - .offset:         72
        .size:           4
        .value_kind:     by_value
      - .offset:         76
        .size:           1
        .value_kind:     by_value
    .group_segment_fixed_size: 3072
    .kernarg_segment_align: 8
    .kernarg_segment_size: 80
    .language:       OpenCL C
    .language_version:
      - 2
      - 0
    .max_flat_workgroup_size: 256
    .name:           _ZN9rocsparseL26coomvn_aos_segmented_loopsILj256ElaaiiEEvlT0_NS_24const_host_device_scalarIT4_EEPKS1_PKT1_PKT2_PT3_PS1_PS3_21rocsparse_index_base_b
    .private_segment_fixed_size: 0
    .sgpr_count:     52
    .sgpr_spill_count: 0
    .symbol:         _ZN9rocsparseL26coomvn_aos_segmented_loopsILj256ElaaiiEEvlT0_NS_24const_host_device_scalarIT4_EEPKS1_PKT1_PKT2_PT3_PS1_PS3_21rocsparse_index_base_b.kd
    .uniform_work_group_size: 1
    .uses_dynamic_stack: false
    .vgpr_count:     29
    .vgpr_spill_count: 0
    .wavefront_size: 64
  - .args:
      - .offset:         0
        .size:           8
        .value_kind:     by_value
      - .offset:         8
        .size:           8
        .value_kind:     by_value
      - .actual_access:  read_only
        .address_space:  global
        .offset:         16
        .size:           8
        .value_kind:     global_buffer
      - .actual_access:  read_only
        .address_space:  global
        .offset:         24
        .size:           8
        .value_kind:     global_buffer
      - .address_space:  global
        .offset:         32
        .size:           8
        .value_kind:     global_buffer
      - .offset:         40
        .size:           1
        .value_kind:     by_value
    .group_segment_fixed_size: 3072
    .kernarg_segment_align: 8
    .kernarg_segment_size: 44
    .language:       OpenCL C
    .language_version:
      - 2
      - 0
    .max_flat_workgroup_size: 256
    .name:           _ZN9rocsparseL29coomvn_segmented_loops_reduceILj256EliiEEvT0_NS_24const_host_device_scalarIT2_EEPKS1_PKS3_PT1_b
    .private_segment_fixed_size: 0
    .sgpr_count:     32
    .sgpr_spill_count: 0
    .symbol:         _ZN9rocsparseL29coomvn_segmented_loops_reduceILj256EliiEEvT0_NS_24const_host_device_scalarIT2_EEPKS1_PKS3_PT1_b.kd
    .uniform_work_group_size: 1
    .uses_dynamic_stack: false
    .vgpr_count:     31
    .vgpr_spill_count: 0
    .wavefront_size: 64
  - .args:
      - .offset:         0
        .size:           8
        .value_kind:     by_value
      - .offset:         8
        .size:           8
        .value_kind:     by_value
      - .actual_access:  read_only
        .address_space:  global
        .offset:         16
        .size:           8
        .value_kind:     global_buffer
      - .actual_access:  read_only
        .address_space:  global
        .offset:         24
        .size:           8
        .value_kind:     global_buffer
      - .actual_access:  read_only
        .address_space:  global
        .offset:         32
        .size:           8
        .value_kind:     global_buffer
      - .address_space:  global
        .offset:         40
        .size:           8
        .value_kind:     global_buffer
      - .offset:         48
        .size:           4
        .value_kind:     by_value
      - .offset:         52
        .size:           1
        .value_kind:     by_value
    .group_segment_fixed_size: 2048
    .kernarg_segment_align: 8
    .kernarg_segment_size: 56
    .language:       OpenCL C
    .language_version:
      - 2
      - 0
    .max_flat_workgroup_size: 256
    .name:           _ZN9rocsparseL23coomvn_aos_atomic_loopsILj256ELj1EiaaffEEvlNS_24const_host_device_scalarIT5_EEPKT1_PKT2_PKT3_PT4_21rocsparse_index_base_b
    .private_segment_fixed_size: 0
    .sgpr_count:     20
    .sgpr_spill_count: 0
    .symbol:         _ZN9rocsparseL23coomvn_aos_atomic_loopsILj256ELj1EiaaffEEvlNS_24const_host_device_scalarIT5_EEPKT1_PKT2_PKT3_PT4_21rocsparse_index_base_b.kd
    .uniform_work_group_size: 1
    .uses_dynamic_stack: false
    .vgpr_count:     8
    .vgpr_spill_count: 0
    .wavefront_size: 64
  - .args:
      - .offset:         0
        .size:           4
        .value_kind:     by_value
      - .offset:         8
        .size:           8
        .value_kind:     by_value
      - .offset:         16
        .size:           8
        .value_kind:     by_value
      - .actual_access:  read_only
        .address_space:  global
        .offset:         24
        .size:           8
        .value_kind:     global_buffer
      - .actual_access:  read_only
        .address_space:  global
        .offset:         32
        .size:           8
        .value_kind:     global_buffer
      - .actual_access:  read_only
        .address_space:  global
        .offset:         40
        .size:           8
        .value_kind:     global_buffer
      - .address_space:  global
        .offset:         48
        .size:           8
        .value_kind:     global_buffer
      - .offset:         56
        .size:           4
        .value_kind:     by_value
      - .offset:         60
        .size:           1
        .value_kind:     by_value
      - .offset:         64
        .size:           4
        .value_kind:     hidden_block_count_x
      - .offset:         68
        .size:           4
        .value_kind:     hidden_block_count_y
      - .offset:         72
        .size:           4
        .value_kind:     hidden_block_count_z
      - .offset:         76
        .size:           2
        .value_kind:     hidden_group_size_x
      - .offset:         78
        .size:           2
        .value_kind:     hidden_group_size_y
      - .offset:         80
        .size:           2
        .value_kind:     hidden_group_size_z
      - .offset:         82
        .size:           2
        .value_kind:     hidden_remainder_x
      - .offset:         84
        .size:           2
        .value_kind:     hidden_remainder_y
      - .offset:         86
        .size:           2
        .value_kind:     hidden_remainder_z
      - .offset:         104
        .size:           8
        .value_kind:     hidden_global_offset_x
      - .offset:         112
        .size:           8
        .value_kind:     hidden_global_offset_y
      - .offset:         120
        .size:           8
        .value_kind:     hidden_global_offset_z
      - .offset:         128
        .size:           2
        .value_kind:     hidden_grid_dims
    .group_segment_fixed_size: 0
    .kernarg_segment_align: 8
    .kernarg_segment_size: 320
    .language:       OpenCL C
    .language_version:
      - 2
      - 0
    .max_flat_workgroup_size: 1024
    .name:           _ZN9rocsparseL17coomvt_aos_kernelILj1024EiaaffEEv20rocsparse_operation_lNS_24const_host_device_scalarIT4_EEPKT0_PKT1_PKT2_PT3_21rocsparse_index_base_b
    .private_segment_fixed_size: 0
    .sgpr_count:     22
    .sgpr_spill_count: 0
    .symbol:         _ZN9rocsparseL17coomvt_aos_kernelILj1024EiaaffEEv20rocsparse_operation_lNS_24const_host_device_scalarIT4_EEPKT0_PKT1_PKT2_PT3_21rocsparse_index_base_b.kd
    .uniform_work_group_size: 1
    .uses_dynamic_stack: false
    .vgpr_count:     8
    .vgpr_spill_count: 0
    .wavefront_size: 64
  - .args:
      - .offset:         0
        .size:           8
        .value_kind:     by_value
      - .offset:         8
        .size:           4
        .value_kind:     by_value
      - .offset:         16
        .size:           8
        .value_kind:     by_value
      - .actual_access:  read_only
        .address_space:  global
        .offset:         24
        .size:           8
        .value_kind:     global_buffer
      - .actual_access:  read_only
        .address_space:  global
        .offset:         32
        .size:           8
        .value_kind:     global_buffer
      - .actual_access:  read_only
        .address_space:  global
        .offset:         40
        .size:           8
        .value_kind:     global_buffer
      - .address_space:  global
        .offset:         48
        .size:           8
        .value_kind:     global_buffer
      - .actual_access:  write_only
        .address_space:  global
        .offset:         56
        .size:           8
        .value_kind:     global_buffer
      - .actual_access:  write_only
        .address_space:  global
        .offset:         64
        .size:           8
        .value_kind:     global_buffer
      - .offset:         72
        .size:           4
        .value_kind:     by_value
      - .offset:         76
        .size:           1
        .value_kind:     by_value
    .group_segment_fixed_size: 2048
    .kernarg_segment_align: 8
    .kernarg_segment_size: 80
    .language:       OpenCL C
    .language_version:
      - 2
      - 0
    .max_flat_workgroup_size: 256
    .name:           _ZN9rocsparseL26coomvn_aos_segmented_loopsILj256EiaaffEEvlT0_NS_24const_host_device_scalarIT4_EEPKS1_PKT1_PKT2_PT3_PS1_PS3_21rocsparse_index_base_b
    .private_segment_fixed_size: 0
    .sgpr_count:     50
    .sgpr_spill_count: 0
    .symbol:         _ZN9rocsparseL26coomvn_aos_segmented_loopsILj256EiaaffEEvlT0_NS_24const_host_device_scalarIT4_EEPKS1_PKT1_PKT2_PT3_PS1_PS3_21rocsparse_index_base_b.kd
    .uniform_work_group_size: 1
    .uses_dynamic_stack: false
    .vgpr_count:     28
    .vgpr_spill_count: 0
    .wavefront_size: 64
  - .args:
      - .offset:         0
        .size:           8
        .value_kind:     by_value
      - .offset:         8
        .size:           8
        .value_kind:     by_value
      - .actual_access:  read_only
        .address_space:  global
        .offset:         16
        .size:           8
        .value_kind:     global_buffer
      - .actual_access:  read_only
        .address_space:  global
        .offset:         24
        .size:           8
        .value_kind:     global_buffer
      - .actual_access:  read_only
        .address_space:  global
        .offset:         32
        .size:           8
        .value_kind:     global_buffer
      - .address_space:  global
        .offset:         40
        .size:           8
        .value_kind:     global_buffer
      - .offset:         48
        .size:           4
        .value_kind:     by_value
      - .offset:         52
        .size:           1
        .value_kind:     by_value
    .group_segment_fixed_size: 3072
    .kernarg_segment_align: 8
    .kernarg_segment_size: 56
    .language:       OpenCL C
    .language_version:
      - 2
      - 0
    .max_flat_workgroup_size: 256
    .name:           _ZN9rocsparseL23coomvn_aos_atomic_loopsILj256ELj1ElaaffEEvlNS_24const_host_device_scalarIT5_EEPKT1_PKT2_PKT3_PT4_21rocsparse_index_base_b
    .private_segment_fixed_size: 0
    .sgpr_count:     20
    .sgpr_spill_count: 0
    .symbol:         _ZN9rocsparseL23coomvn_aos_atomic_loopsILj256ELj1ElaaffEEvlNS_24const_host_device_scalarIT5_EEPKT1_PKT2_PKT3_PT4_21rocsparse_index_base_b.kd
    .uniform_work_group_size: 1
    .uses_dynamic_stack: false
    .vgpr_count:     9
    .vgpr_spill_count: 0
    .wavefront_size: 64
  - .args:
      - .offset:         0
        .size:           4
        .value_kind:     by_value
      - .offset:         8
        .size:           8
        .value_kind:     by_value
      - .offset:         16
        .size:           8
        .value_kind:     by_value
      - .actual_access:  read_only
        .address_space:  global
        .offset:         24
        .size:           8
        .value_kind:     global_buffer
      - .actual_access:  read_only
        .address_space:  global
        .offset:         32
        .size:           8
        .value_kind:     global_buffer
      - .actual_access:  read_only
        .address_space:  global
        .offset:         40
        .size:           8
        .value_kind:     global_buffer
      - .address_space:  global
        .offset:         48
        .size:           8
        .value_kind:     global_buffer
      - .offset:         56
        .size:           4
        .value_kind:     by_value
      - .offset:         60
        .size:           1
        .value_kind:     by_value
      - .offset:         64
        .size:           4
        .value_kind:     hidden_block_count_x
      - .offset:         68
        .size:           4
        .value_kind:     hidden_block_count_y
      - .offset:         72
        .size:           4
        .value_kind:     hidden_block_count_z
      - .offset:         76
        .size:           2
        .value_kind:     hidden_group_size_x
      - .offset:         78
        .size:           2
        .value_kind:     hidden_group_size_y
      - .offset:         80
        .size:           2
        .value_kind:     hidden_group_size_z
      - .offset:         82
        .size:           2
        .value_kind:     hidden_remainder_x
      - .offset:         84
        .size:           2
        .value_kind:     hidden_remainder_y
      - .offset:         86
        .size:           2
        .value_kind:     hidden_remainder_z
      - .offset:         104
        .size:           8
        .value_kind:     hidden_global_offset_x
      - .offset:         112
        .size:           8
        .value_kind:     hidden_global_offset_y
      - .offset:         120
        .size:           8
        .value_kind:     hidden_global_offset_z
      - .offset:         128
        .size:           2
        .value_kind:     hidden_grid_dims
    .group_segment_fixed_size: 0
    .kernarg_segment_align: 8
    .kernarg_segment_size: 320
    .language:       OpenCL C
    .language_version:
      - 2
      - 0
    .max_flat_workgroup_size: 1024
    .name:           _ZN9rocsparseL17coomvt_aos_kernelILj1024ElaaffEEv20rocsparse_operation_lNS_24const_host_device_scalarIT4_EEPKT0_PKT1_PKT2_PT3_21rocsparse_index_base_b
    .private_segment_fixed_size: 0
    .sgpr_count:     22
    .sgpr_spill_count: 0
    .symbol:         _ZN9rocsparseL17coomvt_aos_kernelILj1024ElaaffEEv20rocsparse_operation_lNS_24const_host_device_scalarIT4_EEPKT0_PKT1_PKT2_PT3_21rocsparse_index_base_b.kd
    .uniform_work_group_size: 1
    .uses_dynamic_stack: false
    .vgpr_count:     10
    .vgpr_spill_count: 0
    .wavefront_size: 64
  - .args:
      - .offset:         0
        .size:           8
        .value_kind:     by_value
      - .offset:         8
        .size:           8
        .value_kind:     by_value
      - .offset:         16
        .size:           8
        .value_kind:     by_value
      - .actual_access:  read_only
        .address_space:  global
        .offset:         24
        .size:           8
        .value_kind:     global_buffer
      - .actual_access:  read_only
        .address_space:  global
        .offset:         32
        .size:           8
        .value_kind:     global_buffer
      - .actual_access:  read_only
        .address_space:  global
        .offset:         40
        .size:           8
        .value_kind:     global_buffer
      - .address_space:  global
        .offset:         48
        .size:           8
        .value_kind:     global_buffer
      - .actual_access:  write_only
        .address_space:  global
        .offset:         56
        .size:           8
        .value_kind:     global_buffer
      - .actual_access:  write_only
        .address_space:  global
        .offset:         64
        .size:           8
        .value_kind:     global_buffer
      - .offset:         72
        .size:           4
        .value_kind:     by_value
      - .offset:         76
        .size:           1
        .value_kind:     by_value
    .group_segment_fixed_size: 3072
    .kernarg_segment_align: 8
    .kernarg_segment_size: 80
    .language:       OpenCL C
    .language_version:
      - 2
      - 0
    .max_flat_workgroup_size: 256
    .name:           _ZN9rocsparseL26coomvn_aos_segmented_loopsILj256ElaaffEEvlT0_NS_24const_host_device_scalarIT4_EEPKS1_PKT1_PKT2_PT3_PS1_PS3_21rocsparse_index_base_b
    .private_segment_fixed_size: 0
    .sgpr_count:     54
    .sgpr_spill_count: 0
    .symbol:         _ZN9rocsparseL26coomvn_aos_segmented_loopsILj256ElaaffEEvlT0_NS_24const_host_device_scalarIT4_EEPKS1_PKT1_PKT2_PT3_PS1_PS3_21rocsparse_index_base_b.kd
    .uniform_work_group_size: 1
    .uses_dynamic_stack: false
    .vgpr_count:     29
    .vgpr_spill_count: 0
    .wavefront_size: 64
  - .args:
      - .offset:         0
        .size:           8
        .value_kind:     by_value
      - .offset:         8
        .size:           8
        .value_kind:     by_value
      - .actual_access:  read_only
        .address_space:  global
        .offset:         16
        .size:           8
        .value_kind:     global_buffer
      - .actual_access:  read_only
        .address_space:  global
        .offset:         24
        .size:           8
        .value_kind:     global_buffer
      - .actual_access:  read_only
        .address_space:  global
        .offset:         32
        .size:           8
        .value_kind:     global_buffer
      - .address_space:  global
        .offset:         40
        .size:           8
        .value_kind:     global_buffer
      - .offset:         48
        .size:           4
        .value_kind:     by_value
      - .offset:         52
        .size:           1
        .value_kind:     by_value
    .group_segment_fixed_size: 2048
    .kernarg_segment_align: 8
    .kernarg_segment_size: 56
    .language:       OpenCL C
    .language_version:
      - 2
      - 0
    .max_flat_workgroup_size: 256
    .name:           _ZN9rocsparseL23coomvn_aos_atomic_loopsILj256ELj1EiDF16_DF16_ffEEvlNS_24const_host_device_scalarIT5_EEPKT1_PKT2_PKT3_PT4_21rocsparse_index_base_b
    .private_segment_fixed_size: 0
    .sgpr_count:     20
    .sgpr_spill_count: 0
    .symbol:         _ZN9rocsparseL23coomvn_aos_atomic_loopsILj256ELj1EiDF16_DF16_ffEEvlNS_24const_host_device_scalarIT5_EEPKT1_PKT2_PKT3_PT4_21rocsparse_index_base_b.kd
    .uniform_work_group_size: 1
    .uses_dynamic_stack: false
    .vgpr_count:     8
    .vgpr_spill_count: 0
    .wavefront_size: 64
  - .args:
      - .offset:         0
        .size:           4
        .value_kind:     by_value
      - .offset:         8
        .size:           8
        .value_kind:     by_value
      - .offset:         16
        .size:           8
        .value_kind:     by_value
      - .actual_access:  read_only
        .address_space:  global
        .offset:         24
        .size:           8
        .value_kind:     global_buffer
      - .actual_access:  read_only
        .address_space:  global
        .offset:         32
        .size:           8
        .value_kind:     global_buffer
      - .actual_access:  read_only
        .address_space:  global
        .offset:         40
        .size:           8
        .value_kind:     global_buffer
      - .address_space:  global
        .offset:         48
        .size:           8
        .value_kind:     global_buffer
      - .offset:         56
        .size:           4
        .value_kind:     by_value
      - .offset:         60
        .size:           1
        .value_kind:     by_value
      - .offset:         64
        .size:           4
        .value_kind:     hidden_block_count_x
      - .offset:         68
        .size:           4
        .value_kind:     hidden_block_count_y
      - .offset:         72
        .size:           4
        .value_kind:     hidden_block_count_z
      - .offset:         76
        .size:           2
        .value_kind:     hidden_group_size_x
      - .offset:         78
        .size:           2
        .value_kind:     hidden_group_size_y
      - .offset:         80
        .size:           2
        .value_kind:     hidden_group_size_z
      - .offset:         82
        .size:           2
        .value_kind:     hidden_remainder_x
      - .offset:         84
        .size:           2
        .value_kind:     hidden_remainder_y
      - .offset:         86
        .size:           2
        .value_kind:     hidden_remainder_z
      - .offset:         104
        .size:           8
        .value_kind:     hidden_global_offset_x
      - .offset:         112
        .size:           8
        .value_kind:     hidden_global_offset_y
      - .offset:         120
        .size:           8
        .value_kind:     hidden_global_offset_z
      - .offset:         128
        .size:           2
        .value_kind:     hidden_grid_dims
    .group_segment_fixed_size: 0
    .kernarg_segment_align: 8
    .kernarg_segment_size: 320
    .language:       OpenCL C
    .language_version:
      - 2
      - 0
    .max_flat_workgroup_size: 1024
    .name:           _ZN9rocsparseL17coomvt_aos_kernelILj1024EiDF16_DF16_ffEEv20rocsparse_operation_lNS_24const_host_device_scalarIT4_EEPKT0_PKT1_PKT2_PT3_21rocsparse_index_base_b
    .private_segment_fixed_size: 0
    .sgpr_count:     22
    .sgpr_spill_count: 0
    .symbol:         _ZN9rocsparseL17coomvt_aos_kernelILj1024EiDF16_DF16_ffEEv20rocsparse_operation_lNS_24const_host_device_scalarIT4_EEPKT0_PKT1_PKT2_PT3_21rocsparse_index_base_b.kd
    .uniform_work_group_size: 1
    .uses_dynamic_stack: false
    .vgpr_count:     7
    .vgpr_spill_count: 0
    .wavefront_size: 64
  - .args:
      - .offset:         0
        .size:           8
        .value_kind:     by_value
      - .offset:         8
        .size:           4
        .value_kind:     by_value
      - .offset:         16
        .size:           8
        .value_kind:     by_value
      - .actual_access:  read_only
        .address_space:  global
        .offset:         24
        .size:           8
        .value_kind:     global_buffer
      - .actual_access:  read_only
        .address_space:  global
        .offset:         32
        .size:           8
        .value_kind:     global_buffer
      - .actual_access:  read_only
        .address_space:  global
        .offset:         40
        .size:           8
        .value_kind:     global_buffer
      - .address_space:  global
        .offset:         48
        .size:           8
        .value_kind:     global_buffer
      - .actual_access:  write_only
        .address_space:  global
        .offset:         56
        .size:           8
        .value_kind:     global_buffer
      - .actual_access:  write_only
        .address_space:  global
        .offset:         64
        .size:           8
        .value_kind:     global_buffer
      - .offset:         72
        .size:           4
        .value_kind:     by_value
      - .offset:         76
        .size:           1
        .value_kind:     by_value
    .group_segment_fixed_size: 2048
    .kernarg_segment_align: 8
    .kernarg_segment_size: 80
    .language:       OpenCL C
    .language_version:
      - 2
      - 0
    .max_flat_workgroup_size: 256
    .name:           _ZN9rocsparseL26coomvn_aos_segmented_loopsILj256EiDF16_DF16_ffEEvlT0_NS_24const_host_device_scalarIT4_EEPKS1_PKT1_PKT2_PT3_PS1_PS3_21rocsparse_index_base_b
    .private_segment_fixed_size: 0
    .sgpr_count:     48
    .sgpr_spill_count: 0
    .symbol:         _ZN9rocsparseL26coomvn_aos_segmented_loopsILj256EiDF16_DF16_ffEEvlT0_NS_24const_host_device_scalarIT4_EEPKS1_PKT1_PKT2_PT3_PS1_PS3_21rocsparse_index_base_b.kd
    .uniform_work_group_size: 1
    .uses_dynamic_stack: false
    .vgpr_count:     30
    .vgpr_spill_count: 0
    .wavefront_size: 64
  - .args:
      - .offset:         0
        .size:           8
        .value_kind:     by_value
      - .offset:         8
        .size:           8
        .value_kind:     by_value
      - .actual_access:  read_only
        .address_space:  global
        .offset:         16
        .size:           8
        .value_kind:     global_buffer
      - .actual_access:  read_only
        .address_space:  global
        .offset:         24
        .size:           8
        .value_kind:     global_buffer
      - .actual_access:  read_only
        .address_space:  global
        .offset:         32
        .size:           8
        .value_kind:     global_buffer
      - .address_space:  global
        .offset:         40
        .size:           8
        .value_kind:     global_buffer
      - .offset:         48
        .size:           4
        .value_kind:     by_value
      - .offset:         52
        .size:           1
        .value_kind:     by_value
    .group_segment_fixed_size: 3072
    .kernarg_segment_align: 8
    .kernarg_segment_size: 56
    .language:       OpenCL C
    .language_version:
      - 2
      - 0
    .max_flat_workgroup_size: 256
    .name:           _ZN9rocsparseL23coomvn_aos_atomic_loopsILj256ELj1ElDF16_DF16_ffEEvlNS_24const_host_device_scalarIT5_EEPKT1_PKT2_PKT3_PT4_21rocsparse_index_base_b
    .private_segment_fixed_size: 0
    .sgpr_count:     20
    .sgpr_spill_count: 0
    .symbol:         _ZN9rocsparseL23coomvn_aos_atomic_loopsILj256ELj1ElDF16_DF16_ffEEvlNS_24const_host_device_scalarIT5_EEPKT1_PKT2_PKT3_PT4_21rocsparse_index_base_b.kd
    .uniform_work_group_size: 1
    .uses_dynamic_stack: false
    .vgpr_count:     9
    .vgpr_spill_count: 0
    .wavefront_size: 64
  - .args:
      - .offset:         0
        .size:           4
        .value_kind:     by_value
      - .offset:         8
        .size:           8
        .value_kind:     by_value
      - .offset:         16
        .size:           8
        .value_kind:     by_value
      - .actual_access:  read_only
        .address_space:  global
        .offset:         24
        .size:           8
        .value_kind:     global_buffer
      - .actual_access:  read_only
        .address_space:  global
        .offset:         32
        .size:           8
        .value_kind:     global_buffer
      - .actual_access:  read_only
        .address_space:  global
        .offset:         40
        .size:           8
        .value_kind:     global_buffer
      - .address_space:  global
        .offset:         48
        .size:           8
        .value_kind:     global_buffer
      - .offset:         56
        .size:           4
        .value_kind:     by_value
      - .offset:         60
        .size:           1
        .value_kind:     by_value
      - .offset:         64
        .size:           4
        .value_kind:     hidden_block_count_x
      - .offset:         68
        .size:           4
        .value_kind:     hidden_block_count_y
      - .offset:         72
        .size:           4
        .value_kind:     hidden_block_count_z
      - .offset:         76
        .size:           2
        .value_kind:     hidden_group_size_x
      - .offset:         78
        .size:           2
        .value_kind:     hidden_group_size_y
      - .offset:         80
        .size:           2
        .value_kind:     hidden_group_size_z
      - .offset:         82
        .size:           2
        .value_kind:     hidden_remainder_x
      - .offset:         84
        .size:           2
        .value_kind:     hidden_remainder_y
      - .offset:         86
        .size:           2
        .value_kind:     hidden_remainder_z
      - .offset:         104
        .size:           8
        .value_kind:     hidden_global_offset_x
      - .offset:         112
        .size:           8
        .value_kind:     hidden_global_offset_y
      - .offset:         120
        .size:           8
        .value_kind:     hidden_global_offset_z
      - .offset:         128
        .size:           2
        .value_kind:     hidden_grid_dims
    .group_segment_fixed_size: 0
    .kernarg_segment_align: 8
    .kernarg_segment_size: 320
    .language:       OpenCL C
    .language_version:
      - 2
      - 0
    .max_flat_workgroup_size: 1024
    .name:           _ZN9rocsparseL17coomvt_aos_kernelILj1024ElDF16_DF16_ffEEv20rocsparse_operation_lNS_24const_host_device_scalarIT4_EEPKT0_PKT1_PKT2_PT3_21rocsparse_index_base_b
    .private_segment_fixed_size: 0
    .sgpr_count:     22
    .sgpr_spill_count: 0
    .symbol:         _ZN9rocsparseL17coomvt_aos_kernelILj1024ElDF16_DF16_ffEEv20rocsparse_operation_lNS_24const_host_device_scalarIT4_EEPKT0_PKT1_PKT2_PT3_21rocsparse_index_base_b.kd
    .uniform_work_group_size: 1
    .uses_dynamic_stack: false
    .vgpr_count:     9
    .vgpr_spill_count: 0
    .wavefront_size: 64
  - .args:
      - .offset:         0
        .size:           8
        .value_kind:     by_value
      - .offset:         8
        .size:           8
        .value_kind:     by_value
      - .offset:         16
        .size:           8
        .value_kind:     by_value
      - .actual_access:  read_only
        .address_space:  global
        .offset:         24
        .size:           8
        .value_kind:     global_buffer
      - .actual_access:  read_only
        .address_space:  global
        .offset:         32
        .size:           8
        .value_kind:     global_buffer
      - .actual_access:  read_only
        .address_space:  global
        .offset:         40
        .size:           8
        .value_kind:     global_buffer
      - .address_space:  global
        .offset:         48
        .size:           8
        .value_kind:     global_buffer
      - .actual_access:  write_only
        .address_space:  global
        .offset:         56
        .size:           8
        .value_kind:     global_buffer
      - .actual_access:  write_only
        .address_space:  global
        .offset:         64
        .size:           8
        .value_kind:     global_buffer
      - .offset:         72
        .size:           4
        .value_kind:     by_value
      - .offset:         76
        .size:           1
        .value_kind:     by_value
    .group_segment_fixed_size: 3072
    .kernarg_segment_align: 8
    .kernarg_segment_size: 80
    .language:       OpenCL C
    .language_version:
      - 2
      - 0
    .max_flat_workgroup_size: 256
    .name:           _ZN9rocsparseL26coomvn_aos_segmented_loopsILj256ElDF16_DF16_ffEEvlT0_NS_24const_host_device_scalarIT4_EEPKS1_PKT1_PKT2_PT3_PS1_PS3_21rocsparse_index_base_b
    .private_segment_fixed_size: 0
    .sgpr_count:     52
    .sgpr_spill_count: 0
    .symbol:         _ZN9rocsparseL26coomvn_aos_segmented_loopsILj256ElDF16_DF16_ffEEvlT0_NS_24const_host_device_scalarIT4_EEPKS1_PKT1_PKT2_PT3_PS1_PS3_21rocsparse_index_base_b.kd
    .uniform_work_group_size: 1
    .uses_dynamic_stack: false
    .vgpr_count:     33
    .vgpr_spill_count: 0
    .wavefront_size: 64
  - .args:
      - .offset:         0
        .size:           8
        .value_kind:     by_value
      - .offset:         8
        .size:           8
        .value_kind:     by_value
      - .actual_access:  read_only
        .address_space:  global
        .offset:         16
        .size:           8
        .value_kind:     global_buffer
      - .actual_access:  read_only
        .address_space:  global
        .offset:         24
        .size:           8
        .value_kind:     global_buffer
      - .actual_access:  read_only
        .address_space:  global
        .offset:         32
        .size:           8
        .value_kind:     global_buffer
      - .address_space:  global
        .offset:         40
        .size:           8
        .value_kind:     global_buffer
      - .offset:         48
        .size:           4
        .value_kind:     by_value
      - .offset:         52
        .size:           1
        .value_kind:     by_value
    .group_segment_fixed_size: 2048
    .kernarg_segment_align: 8
    .kernarg_segment_size: 56
    .language:       OpenCL C
    .language_version:
      - 2
      - 0
    .max_flat_workgroup_size: 256
    .name:           _ZN9rocsparseL23coomvn_aos_atomic_loopsILj256ELj1Ei18rocsparse_bfloat16S1_ffEEvlNS_24const_host_device_scalarIT5_EEPKT1_PKT2_PKT3_PT4_21rocsparse_index_base_b
    .private_segment_fixed_size: 0
    .sgpr_count:     20
    .sgpr_spill_count: 0
    .symbol:         _ZN9rocsparseL23coomvn_aos_atomic_loopsILj256ELj1Ei18rocsparse_bfloat16S1_ffEEvlNS_24const_host_device_scalarIT5_EEPKT1_PKT2_PKT3_PT4_21rocsparse_index_base_b.kd
    .uniform_work_group_size: 1
    .uses_dynamic_stack: false
    .vgpr_count:     8
    .vgpr_spill_count: 0
    .wavefront_size: 64
  - .args:
      - .offset:         0
        .size:           4
        .value_kind:     by_value
      - .offset:         8
        .size:           8
        .value_kind:     by_value
      - .offset:         16
        .size:           8
        .value_kind:     by_value
      - .actual_access:  read_only
        .address_space:  global
        .offset:         24
        .size:           8
        .value_kind:     global_buffer
      - .actual_access:  read_only
        .address_space:  global
        .offset:         32
        .size:           8
        .value_kind:     global_buffer
      - .actual_access:  read_only
        .address_space:  global
        .offset:         40
        .size:           8
        .value_kind:     global_buffer
      - .address_space:  global
        .offset:         48
        .size:           8
        .value_kind:     global_buffer
      - .offset:         56
        .size:           4
        .value_kind:     by_value
      - .offset:         60
        .size:           1
        .value_kind:     by_value
      - .offset:         64
        .size:           4
        .value_kind:     hidden_block_count_x
      - .offset:         68
        .size:           4
        .value_kind:     hidden_block_count_y
      - .offset:         72
        .size:           4
        .value_kind:     hidden_block_count_z
      - .offset:         76
        .size:           2
        .value_kind:     hidden_group_size_x
      - .offset:         78
        .size:           2
        .value_kind:     hidden_group_size_y
      - .offset:         80
        .size:           2
        .value_kind:     hidden_group_size_z
      - .offset:         82
        .size:           2
        .value_kind:     hidden_remainder_x
      - .offset:         84
        .size:           2
        .value_kind:     hidden_remainder_y
      - .offset:         86
        .size:           2
        .value_kind:     hidden_remainder_z
      - .offset:         104
        .size:           8
        .value_kind:     hidden_global_offset_x
      - .offset:         112
        .size:           8
        .value_kind:     hidden_global_offset_y
      - .offset:         120
        .size:           8
        .value_kind:     hidden_global_offset_z
      - .offset:         128
        .size:           2
        .value_kind:     hidden_grid_dims
    .group_segment_fixed_size: 0
    .kernarg_segment_align: 8
    .kernarg_segment_size: 320
    .language:       OpenCL C
    .language_version:
      - 2
      - 0
    .max_flat_workgroup_size: 1024
    .name:           _ZN9rocsparseL17coomvt_aos_kernelILj1024Ei18rocsparse_bfloat16S1_ffEEv20rocsparse_operation_lNS_24const_host_device_scalarIT4_EEPKT0_PKT1_PKT2_PT3_21rocsparse_index_base_b
    .private_segment_fixed_size: 0
    .sgpr_count:     22
    .sgpr_spill_count: 0
    .symbol:         _ZN9rocsparseL17coomvt_aos_kernelILj1024Ei18rocsparse_bfloat16S1_ffEEv20rocsparse_operation_lNS_24const_host_device_scalarIT4_EEPKT0_PKT1_PKT2_PT3_21rocsparse_index_base_b.kd
    .uniform_work_group_size: 1
    .uses_dynamic_stack: false
    .vgpr_count:     7
    .vgpr_spill_count: 0
    .wavefront_size: 64
  - .args:
      - .offset:         0
        .size:           8
        .value_kind:     by_value
      - .offset:         8
        .size:           4
        .value_kind:     by_value
      - .offset:         16
        .size:           8
        .value_kind:     by_value
      - .actual_access:  read_only
        .address_space:  global
        .offset:         24
        .size:           8
        .value_kind:     global_buffer
      - .actual_access:  read_only
        .address_space:  global
        .offset:         32
        .size:           8
        .value_kind:     global_buffer
      - .actual_access:  read_only
        .address_space:  global
        .offset:         40
        .size:           8
        .value_kind:     global_buffer
      - .address_space:  global
        .offset:         48
        .size:           8
        .value_kind:     global_buffer
      - .actual_access:  write_only
        .address_space:  global
        .offset:         56
        .size:           8
        .value_kind:     global_buffer
      - .actual_access:  write_only
        .address_space:  global
        .offset:         64
        .size:           8
        .value_kind:     global_buffer
      - .offset:         72
        .size:           4
        .value_kind:     by_value
      - .offset:         76
        .size:           1
        .value_kind:     by_value
    .group_segment_fixed_size: 2048
    .kernarg_segment_align: 8
    .kernarg_segment_size: 80
    .language:       OpenCL C
    .language_version:
      - 2
      - 0
    .max_flat_workgroup_size: 256
    .name:           _ZN9rocsparseL26coomvn_aos_segmented_loopsILj256Ei18rocsparse_bfloat16S1_ffEEvlT0_NS_24const_host_device_scalarIT4_EEPKS2_PKT1_PKT2_PT3_PS2_PS4_21rocsparse_index_base_b
    .private_segment_fixed_size: 0
    .sgpr_count:     48
    .sgpr_spill_count: 0
    .symbol:         _ZN9rocsparseL26coomvn_aos_segmented_loopsILj256Ei18rocsparse_bfloat16S1_ffEEvlT0_NS_24const_host_device_scalarIT4_EEPKS2_PKT1_PKT2_PT3_PS2_PS4_21rocsparse_index_base_b.kd
    .uniform_work_group_size: 1
    .uses_dynamic_stack: false
    .vgpr_count:     30
    .vgpr_spill_count: 0
    .wavefront_size: 64
  - .args:
      - .offset:         0
        .size:           8
        .value_kind:     by_value
      - .offset:         8
        .size:           8
        .value_kind:     by_value
      - .actual_access:  read_only
        .address_space:  global
        .offset:         16
        .size:           8
        .value_kind:     global_buffer
      - .actual_access:  read_only
        .address_space:  global
        .offset:         24
        .size:           8
        .value_kind:     global_buffer
      - .actual_access:  read_only
        .address_space:  global
        .offset:         32
        .size:           8
        .value_kind:     global_buffer
      - .address_space:  global
        .offset:         40
        .size:           8
        .value_kind:     global_buffer
      - .offset:         48
        .size:           4
        .value_kind:     by_value
      - .offset:         52
        .size:           1
        .value_kind:     by_value
    .group_segment_fixed_size: 3072
    .kernarg_segment_align: 8
    .kernarg_segment_size: 56
    .language:       OpenCL C
    .language_version:
      - 2
      - 0
    .max_flat_workgroup_size: 256
    .name:           _ZN9rocsparseL23coomvn_aos_atomic_loopsILj256ELj1El18rocsparse_bfloat16S1_ffEEvlNS_24const_host_device_scalarIT5_EEPKT1_PKT2_PKT3_PT4_21rocsparse_index_base_b
    .private_segment_fixed_size: 0
    .sgpr_count:     20
    .sgpr_spill_count: 0
    .symbol:         _ZN9rocsparseL23coomvn_aos_atomic_loopsILj256ELj1El18rocsparse_bfloat16S1_ffEEvlNS_24const_host_device_scalarIT5_EEPKT1_PKT2_PKT3_PT4_21rocsparse_index_base_b.kd
    .uniform_work_group_size: 1
    .uses_dynamic_stack: false
    .vgpr_count:     9
    .vgpr_spill_count: 0
    .wavefront_size: 64
  - .args:
      - .offset:         0
        .size:           4
        .value_kind:     by_value
      - .offset:         8
        .size:           8
        .value_kind:     by_value
      - .offset:         16
        .size:           8
        .value_kind:     by_value
      - .actual_access:  read_only
        .address_space:  global
        .offset:         24
        .size:           8
        .value_kind:     global_buffer
      - .actual_access:  read_only
        .address_space:  global
        .offset:         32
        .size:           8
        .value_kind:     global_buffer
      - .actual_access:  read_only
        .address_space:  global
        .offset:         40
        .size:           8
        .value_kind:     global_buffer
      - .address_space:  global
        .offset:         48
        .size:           8
        .value_kind:     global_buffer
      - .offset:         56
        .size:           4
        .value_kind:     by_value
      - .offset:         60
        .size:           1
        .value_kind:     by_value
      - .offset:         64
        .size:           4
        .value_kind:     hidden_block_count_x
      - .offset:         68
        .size:           4
        .value_kind:     hidden_block_count_y
      - .offset:         72
        .size:           4
        .value_kind:     hidden_block_count_z
      - .offset:         76
        .size:           2
        .value_kind:     hidden_group_size_x
      - .offset:         78
        .size:           2
        .value_kind:     hidden_group_size_y
      - .offset:         80
        .size:           2
        .value_kind:     hidden_group_size_z
      - .offset:         82
        .size:           2
        .value_kind:     hidden_remainder_x
      - .offset:         84
        .size:           2
        .value_kind:     hidden_remainder_y
      - .offset:         86
        .size:           2
        .value_kind:     hidden_remainder_z
      - .offset:         104
        .size:           8
        .value_kind:     hidden_global_offset_x
      - .offset:         112
        .size:           8
        .value_kind:     hidden_global_offset_y
      - .offset:         120
        .size:           8
        .value_kind:     hidden_global_offset_z
      - .offset:         128
        .size:           2
        .value_kind:     hidden_grid_dims
    .group_segment_fixed_size: 0
    .kernarg_segment_align: 8
    .kernarg_segment_size: 320
    .language:       OpenCL C
    .language_version:
      - 2
      - 0
    .max_flat_workgroup_size: 1024
    .name:           _ZN9rocsparseL17coomvt_aos_kernelILj1024El18rocsparse_bfloat16S1_ffEEv20rocsparse_operation_lNS_24const_host_device_scalarIT4_EEPKT0_PKT1_PKT2_PT3_21rocsparse_index_base_b
    .private_segment_fixed_size: 0
    .sgpr_count:     22
    .sgpr_spill_count: 0
    .symbol:         _ZN9rocsparseL17coomvt_aos_kernelILj1024El18rocsparse_bfloat16S1_ffEEv20rocsparse_operation_lNS_24const_host_device_scalarIT4_EEPKT0_PKT1_PKT2_PT3_21rocsparse_index_base_b.kd
    .uniform_work_group_size: 1
    .uses_dynamic_stack: false
    .vgpr_count:     9
    .vgpr_spill_count: 0
    .wavefront_size: 64
  - .args:
      - .offset:         0
        .size:           8
        .value_kind:     by_value
      - .offset:         8
        .size:           8
        .value_kind:     by_value
      - .offset:         16
        .size:           8
        .value_kind:     by_value
      - .actual_access:  read_only
        .address_space:  global
        .offset:         24
        .size:           8
        .value_kind:     global_buffer
      - .actual_access:  read_only
        .address_space:  global
        .offset:         32
        .size:           8
        .value_kind:     global_buffer
      - .actual_access:  read_only
        .address_space:  global
        .offset:         40
        .size:           8
        .value_kind:     global_buffer
      - .address_space:  global
        .offset:         48
        .size:           8
        .value_kind:     global_buffer
      - .actual_access:  write_only
        .address_space:  global
        .offset:         56
        .size:           8
        .value_kind:     global_buffer
      - .actual_access:  write_only
        .address_space:  global
        .offset:         64
        .size:           8
        .value_kind:     global_buffer
      - .offset:         72
        .size:           4
        .value_kind:     by_value
      - .offset:         76
        .size:           1
        .value_kind:     by_value
    .group_segment_fixed_size: 3072
    .kernarg_segment_align: 8
    .kernarg_segment_size: 80
    .language:       OpenCL C
    .language_version:
      - 2
      - 0
    .max_flat_workgroup_size: 256
    .name:           _ZN9rocsparseL26coomvn_aos_segmented_loopsILj256El18rocsparse_bfloat16S1_ffEEvlT0_NS_24const_host_device_scalarIT4_EEPKS2_PKT1_PKT2_PT3_PS2_PS4_21rocsparse_index_base_b
    .private_segment_fixed_size: 0
    .sgpr_count:     52
    .sgpr_spill_count: 0
    .symbol:         _ZN9rocsparseL26coomvn_aos_segmented_loopsILj256El18rocsparse_bfloat16S1_ffEEvlT0_NS_24const_host_device_scalarIT4_EEPKS2_PKT1_PKT2_PT3_PS2_PS4_21rocsparse_index_base_b.kd
    .uniform_work_group_size: 1
    .uses_dynamic_stack: false
    .vgpr_count:     33
    .vgpr_spill_count: 0
    .wavefront_size: 64
  - .args:
      - .offset:         0
        .size:           8
        .value_kind:     by_value
      - .offset:         8
        .size:           8
        .value_kind:     by_value
      - .actual_access:  read_only
        .address_space:  global
        .offset:         16
        .size:           8
        .value_kind:     global_buffer
      - .actual_access:  read_only
        .address_space:  global
        .offset:         24
        .size:           8
        .value_kind:     global_buffer
      - .actual_access:  read_only
        .address_space:  global
        .offset:         32
        .size:           8
        .value_kind:     global_buffer
      - .address_space:  global
        .offset:         40
        .size:           8
        .value_kind:     global_buffer
      - .offset:         48
        .size:           4
        .value_kind:     by_value
      - .offset:         52
        .size:           1
        .value_kind:     by_value
    .group_segment_fixed_size: 3072
    .kernarg_segment_align: 8
    .kernarg_segment_size: 56
    .language:       OpenCL C
    .language_version:
      - 2
      - 0
    .max_flat_workgroup_size: 256
    .name:           _ZN9rocsparseL23coomvn_aos_atomic_loopsILj256ELj1Eif21rocsparse_complex_numIfES2_S2_EEvlNS_24const_host_device_scalarIT5_EEPKT1_PKT2_PKT3_PT4_21rocsparse_index_base_b
    .private_segment_fixed_size: 0
    .sgpr_count:     16
    .sgpr_spill_count: 0
    .symbol:         _ZN9rocsparseL23coomvn_aos_atomic_loopsILj256ELj1Eif21rocsparse_complex_numIfES2_S2_EEvlNS_24const_host_device_scalarIT5_EEPKT1_PKT2_PKT3_PT4_21rocsparse_index_base_b.kd
    .uniform_work_group_size: 1
    .uses_dynamic_stack: false
    .vgpr_count:     12
    .vgpr_spill_count: 0
    .wavefront_size: 64
  - .args:
      - .offset:         0
        .size:           4
        .value_kind:     by_value
      - .offset:         8
        .size:           8
        .value_kind:     by_value
      - .offset:         16
        .size:           8
        .value_kind:     by_value
      - .actual_access:  read_only
        .address_space:  global
        .offset:         24
        .size:           8
        .value_kind:     global_buffer
      - .actual_access:  read_only
        .address_space:  global
        .offset:         32
        .size:           8
        .value_kind:     global_buffer
      - .actual_access:  read_only
        .address_space:  global
        .offset:         40
        .size:           8
        .value_kind:     global_buffer
      - .address_space:  global
        .offset:         48
        .size:           8
        .value_kind:     global_buffer
      - .offset:         56
        .size:           4
        .value_kind:     by_value
      - .offset:         60
        .size:           1
        .value_kind:     by_value
      - .offset:         64
        .size:           4
        .value_kind:     hidden_block_count_x
      - .offset:         68
        .size:           4
        .value_kind:     hidden_block_count_y
      - .offset:         72
        .size:           4
        .value_kind:     hidden_block_count_z
      - .offset:         76
        .size:           2
        .value_kind:     hidden_group_size_x
      - .offset:         78
        .size:           2
        .value_kind:     hidden_group_size_y
      - .offset:         80
        .size:           2
        .value_kind:     hidden_group_size_z
      - .offset:         82
        .size:           2
        .value_kind:     hidden_remainder_x
      - .offset:         84
        .size:           2
        .value_kind:     hidden_remainder_y
      - .offset:         86
        .size:           2
        .value_kind:     hidden_remainder_z
      - .offset:         104
        .size:           8
        .value_kind:     hidden_global_offset_x
      - .offset:         112
        .size:           8
        .value_kind:     hidden_global_offset_y
      - .offset:         120
        .size:           8
        .value_kind:     hidden_global_offset_z
      - .offset:         128
        .size:           2
        .value_kind:     hidden_grid_dims
    .group_segment_fixed_size: 0
    .kernarg_segment_align: 8
    .kernarg_segment_size: 320
    .language:       OpenCL C
    .language_version:
      - 2
      - 0
    .max_flat_workgroup_size: 1024
    .name:           _ZN9rocsparseL17coomvt_aos_kernelILj1024Eif21rocsparse_complex_numIfES2_S2_EEv20rocsparse_operation_lNS_24const_host_device_scalarIT4_EEPKT0_PKT1_PKT2_PT3_21rocsparse_index_base_b
    .private_segment_fixed_size: 0
    .sgpr_count:     20
    .sgpr_spill_count: 0
    .symbol:         _ZN9rocsparseL17coomvt_aos_kernelILj1024Eif21rocsparse_complex_numIfES2_S2_EEv20rocsparse_operation_lNS_24const_host_device_scalarIT4_EEPKT0_PKT1_PKT2_PT3_21rocsparse_index_base_b.kd
    .uniform_work_group_size: 1
    .uses_dynamic_stack: false
    .vgpr_count:     12
    .vgpr_spill_count: 0
    .wavefront_size: 64
  - .args:
      - .offset:         0
        .size:           8
        .value_kind:     by_value
      - .offset:         8
        .size:           4
        .value_kind:     by_value
      - .offset:         16
        .size:           8
        .value_kind:     by_value
      - .actual_access:  read_only
        .address_space:  global
        .offset:         24
        .size:           8
        .value_kind:     global_buffer
      - .actual_access:  read_only
        .address_space:  global
        .offset:         32
        .size:           8
        .value_kind:     global_buffer
      - .actual_access:  read_only
        .address_space:  global
        .offset:         40
        .size:           8
        .value_kind:     global_buffer
      - .address_space:  global
        .offset:         48
        .size:           8
        .value_kind:     global_buffer
      - .actual_access:  write_only
        .address_space:  global
        .offset:         56
        .size:           8
        .value_kind:     global_buffer
      - .actual_access:  write_only
        .address_space:  global
        .offset:         64
        .size:           8
        .value_kind:     global_buffer
      - .offset:         72
        .size:           4
        .value_kind:     by_value
      - .offset:         76
        .size:           1
        .value_kind:     by_value
    .group_segment_fixed_size: 3072
    .kernarg_segment_align: 8
    .kernarg_segment_size: 80
    .language:       OpenCL C
    .language_version:
      - 2
      - 0
    .max_flat_workgroup_size: 256
    .name:           _ZN9rocsparseL26coomvn_aos_segmented_loopsILj256Eif21rocsparse_complex_numIfES2_S2_EEvlT0_NS_24const_host_device_scalarIT4_EEPKS3_PKT1_PKT2_PT3_PS3_PS5_21rocsparse_index_base_b
    .private_segment_fixed_size: 0
    .sgpr_count:     47
    .sgpr_spill_count: 0
    .symbol:         _ZN9rocsparseL26coomvn_aos_segmented_loopsILj256Eif21rocsparse_complex_numIfES2_S2_EEvlT0_NS_24const_host_device_scalarIT4_EEPKS3_PKT1_PKT2_PT3_PS3_PS5_21rocsparse_index_base_b.kd
    .uniform_work_group_size: 1
    .uses_dynamic_stack: false
    .vgpr_count:     32
    .vgpr_spill_count: 0
    .wavefront_size: 64
  - .args:
      - .offset:         0
        .size:           8
        .value_kind:     by_value
      - .offset:         8
        .size:           8
        .value_kind:     by_value
      - .actual_access:  read_only
        .address_space:  global
        .offset:         16
        .size:           8
        .value_kind:     global_buffer
      - .actual_access:  read_only
        .address_space:  global
        .offset:         24
        .size:           8
        .value_kind:     global_buffer
      - .actual_access:  read_only
        .address_space:  global
        .offset:         32
        .size:           8
        .value_kind:     global_buffer
      - .address_space:  global
        .offset:         40
        .size:           8
        .value_kind:     global_buffer
      - .offset:         48
        .size:           4
        .value_kind:     by_value
      - .offset:         52
        .size:           1
        .value_kind:     by_value
    .group_segment_fixed_size: 4096
    .kernarg_segment_align: 8
    .kernarg_segment_size: 56
    .language:       OpenCL C
    .language_version:
      - 2
      - 0
    .max_flat_workgroup_size: 256
    .name:           _ZN9rocsparseL23coomvn_aos_atomic_loopsILj256ELj1Elf21rocsparse_complex_numIfES2_S2_EEvlNS_24const_host_device_scalarIT5_EEPKT1_PKT2_PKT3_PT4_21rocsparse_index_base_b
    .private_segment_fixed_size: 0
    .sgpr_count:     16
    .sgpr_spill_count: 0
    .symbol:         _ZN9rocsparseL23coomvn_aos_atomic_loopsILj256ELj1Elf21rocsparse_complex_numIfES2_S2_EEvlNS_24const_host_device_scalarIT5_EEPKT1_PKT2_PKT3_PT4_21rocsparse_index_base_b.kd
    .uniform_work_group_size: 1
    .uses_dynamic_stack: false
    .vgpr_count:     12
    .vgpr_spill_count: 0
    .wavefront_size: 64
  - .args:
      - .offset:         0
        .size:           4
        .value_kind:     by_value
      - .offset:         8
        .size:           8
        .value_kind:     by_value
      - .offset:         16
        .size:           8
        .value_kind:     by_value
      - .actual_access:  read_only
        .address_space:  global
        .offset:         24
        .size:           8
        .value_kind:     global_buffer
      - .actual_access:  read_only
        .address_space:  global
        .offset:         32
        .size:           8
        .value_kind:     global_buffer
      - .actual_access:  read_only
        .address_space:  global
        .offset:         40
        .size:           8
        .value_kind:     global_buffer
      - .address_space:  global
        .offset:         48
        .size:           8
        .value_kind:     global_buffer
      - .offset:         56
        .size:           4
        .value_kind:     by_value
      - .offset:         60
        .size:           1
        .value_kind:     by_value
      - .offset:         64
        .size:           4
        .value_kind:     hidden_block_count_x
      - .offset:         68
        .size:           4
        .value_kind:     hidden_block_count_y
      - .offset:         72
        .size:           4
        .value_kind:     hidden_block_count_z
      - .offset:         76
        .size:           2
        .value_kind:     hidden_group_size_x
      - .offset:         78
        .size:           2
        .value_kind:     hidden_group_size_y
      - .offset:         80
        .size:           2
        .value_kind:     hidden_group_size_z
      - .offset:         82
        .size:           2
        .value_kind:     hidden_remainder_x
      - .offset:         84
        .size:           2
        .value_kind:     hidden_remainder_y
      - .offset:         86
        .size:           2
        .value_kind:     hidden_remainder_z
      - .offset:         104
        .size:           8
        .value_kind:     hidden_global_offset_x
      - .offset:         112
        .size:           8
        .value_kind:     hidden_global_offset_y
      - .offset:         120
        .size:           8
        .value_kind:     hidden_global_offset_z
      - .offset:         128
        .size:           2
        .value_kind:     hidden_grid_dims
    .group_segment_fixed_size: 0
    .kernarg_segment_align: 8
    .kernarg_segment_size: 320
    .language:       OpenCL C
    .language_version:
      - 2
      - 0
    .max_flat_workgroup_size: 1024
    .name:           _ZN9rocsparseL17coomvt_aos_kernelILj1024Elf21rocsparse_complex_numIfES2_S2_EEv20rocsparse_operation_lNS_24const_host_device_scalarIT4_EEPKT0_PKT1_PKT2_PT3_21rocsparse_index_base_b
    .private_segment_fixed_size: 0
    .sgpr_count:     20
    .sgpr_spill_count: 0
    .symbol:         _ZN9rocsparseL17coomvt_aos_kernelILj1024Elf21rocsparse_complex_numIfES2_S2_EEv20rocsparse_operation_lNS_24const_host_device_scalarIT4_EEPKT0_PKT1_PKT2_PT3_21rocsparse_index_base_b.kd
    .uniform_work_group_size: 1
    .uses_dynamic_stack: false
    .vgpr_count:     12
    .vgpr_spill_count: 0
    .wavefront_size: 64
  - .args:
      - .offset:         0
        .size:           8
        .value_kind:     by_value
      - .offset:         8
        .size:           8
        .value_kind:     by_value
      - .offset:         16
        .size:           8
        .value_kind:     by_value
      - .actual_access:  read_only
        .address_space:  global
        .offset:         24
        .size:           8
        .value_kind:     global_buffer
      - .actual_access:  read_only
        .address_space:  global
        .offset:         32
        .size:           8
        .value_kind:     global_buffer
      - .actual_access:  read_only
        .address_space:  global
        .offset:         40
        .size:           8
        .value_kind:     global_buffer
      - .address_space:  global
        .offset:         48
        .size:           8
        .value_kind:     global_buffer
      - .actual_access:  write_only
        .address_space:  global
        .offset:         56
        .size:           8
        .value_kind:     global_buffer
      - .actual_access:  write_only
        .address_space:  global
        .offset:         64
        .size:           8
        .value_kind:     global_buffer
      - .offset:         72
        .size:           4
        .value_kind:     by_value
      - .offset:         76
        .size:           1
        .value_kind:     by_value
    .group_segment_fixed_size: 4096
    .kernarg_segment_align: 8
    .kernarg_segment_size: 80
    .language:       OpenCL C
    .language_version:
      - 2
      - 0
    .max_flat_workgroup_size: 256
    .name:           _ZN9rocsparseL26coomvn_aos_segmented_loopsILj256Elf21rocsparse_complex_numIfES2_S2_EEvlT0_NS_24const_host_device_scalarIT4_EEPKS3_PKT1_PKT2_PT3_PS3_PS5_21rocsparse_index_base_b
    .private_segment_fixed_size: 0
    .sgpr_count:     50
    .sgpr_spill_count: 0
    .symbol:         _ZN9rocsparseL26coomvn_aos_segmented_loopsILj256Elf21rocsparse_complex_numIfES2_S2_EEvlT0_NS_24const_host_device_scalarIT4_EEPKS3_PKT1_PKT2_PT3_PS3_PS5_21rocsparse_index_base_b.kd
    .uniform_work_group_size: 1
    .uses_dynamic_stack: false
    .vgpr_count:     35
    .vgpr_spill_count: 0
    .wavefront_size: 64
  - .args:
      - .offset:         0
        .size:           8
        .value_kind:     by_value
      - .offset:         8
        .size:           16
        .value_kind:     by_value
      - .actual_access:  read_only
        .address_space:  global
        .offset:         24
        .size:           8
        .value_kind:     global_buffer
      - .actual_access:  read_only
        .address_space:  global
        .offset:         32
        .size:           8
        .value_kind:     global_buffer
      - .actual_access:  read_only
        .address_space:  global
        .offset:         40
        .size:           8
        .value_kind:     global_buffer
      - .address_space:  global
        .offset:         48
        .size:           8
        .value_kind:     global_buffer
      - .offset:         56
        .size:           4
        .value_kind:     by_value
      - .offset:         60
        .size:           1
        .value_kind:     by_value
    .group_segment_fixed_size: 5120
    .kernarg_segment_align: 8
    .kernarg_segment_size: 64
    .language:       OpenCL C
    .language_version:
      - 2
      - 0
    .max_flat_workgroup_size: 256
    .name:           _ZN9rocsparseL23coomvn_aos_atomic_loopsILj256ELj1Eid21rocsparse_complex_numIdES2_S2_EEvlNS_24const_host_device_scalarIT5_EEPKT1_PKT2_PKT3_PT4_21rocsparse_index_base_b
    .private_segment_fixed_size: 0
    .sgpr_count:     16
    .sgpr_spill_count: 0
    .symbol:         _ZN9rocsparseL23coomvn_aos_atomic_loopsILj256ELj1Eid21rocsparse_complex_numIdES2_S2_EEvlNS_24const_host_device_scalarIT5_EEPKT1_PKT2_PKT3_PT4_21rocsparse_index_base_b.kd
    .uniform_work_group_size: 1
    .uses_dynamic_stack: false
    .vgpr_count:     18
    .vgpr_spill_count: 0
    .wavefront_size: 64
  - .args:
      - .offset:         0
        .size:           4
        .value_kind:     by_value
      - .offset:         8
        .size:           8
        .value_kind:     by_value
      - .offset:         16
        .size:           16
        .value_kind:     by_value
      - .actual_access:  read_only
        .address_space:  global
        .offset:         32
        .size:           8
        .value_kind:     global_buffer
      - .actual_access:  read_only
        .address_space:  global
        .offset:         40
        .size:           8
        .value_kind:     global_buffer
      - .actual_access:  read_only
        .address_space:  global
        .offset:         48
        .size:           8
        .value_kind:     global_buffer
      - .address_space:  global
        .offset:         56
        .size:           8
        .value_kind:     global_buffer
      - .offset:         64
        .size:           4
        .value_kind:     by_value
      - .offset:         68
        .size:           1
        .value_kind:     by_value
      - .offset:         72
        .size:           4
        .value_kind:     hidden_block_count_x
      - .offset:         76
        .size:           4
        .value_kind:     hidden_block_count_y
      - .offset:         80
        .size:           4
        .value_kind:     hidden_block_count_z
      - .offset:         84
        .size:           2
        .value_kind:     hidden_group_size_x
      - .offset:         86
        .size:           2
        .value_kind:     hidden_group_size_y
      - .offset:         88
        .size:           2
        .value_kind:     hidden_group_size_z
      - .offset:         90
        .size:           2
        .value_kind:     hidden_remainder_x
      - .offset:         92
        .size:           2
        .value_kind:     hidden_remainder_y
      - .offset:         94
        .size:           2
        .value_kind:     hidden_remainder_z
      - .offset:         112
        .size:           8
        .value_kind:     hidden_global_offset_x
      - .offset:         120
        .size:           8
        .value_kind:     hidden_global_offset_y
      - .offset:         128
        .size:           8
        .value_kind:     hidden_global_offset_z
      - .offset:         136
        .size:           2
        .value_kind:     hidden_grid_dims
    .group_segment_fixed_size: 0
    .kernarg_segment_align: 8
    .kernarg_segment_size: 328
    .language:       OpenCL C
    .language_version:
      - 2
      - 0
    .max_flat_workgroup_size: 1024
    .name:           _ZN9rocsparseL17coomvt_aos_kernelILj1024Eid21rocsparse_complex_numIdES2_S2_EEv20rocsparse_operation_lNS_24const_host_device_scalarIT4_EEPKT0_PKT1_PKT2_PT3_21rocsparse_index_base_b
    .private_segment_fixed_size: 0
    .sgpr_count:     20
    .sgpr_spill_count: 0
    .symbol:         _ZN9rocsparseL17coomvt_aos_kernelILj1024Eid21rocsparse_complex_numIdES2_S2_EEv20rocsparse_operation_lNS_24const_host_device_scalarIT4_EEPKT0_PKT1_PKT2_PT3_21rocsparse_index_base_b.kd
    .uniform_work_group_size: 1
    .uses_dynamic_stack: false
    .vgpr_count:     21
    .vgpr_spill_count: 0
    .wavefront_size: 64
  - .args:
      - .offset:         0
        .size:           8
        .value_kind:     by_value
      - .offset:         8
        .size:           4
        .value_kind:     by_value
      - .offset:         16
        .size:           16
        .value_kind:     by_value
      - .actual_access:  read_only
        .address_space:  global
        .offset:         32
        .size:           8
        .value_kind:     global_buffer
      - .actual_access:  read_only
        .address_space:  global
        .offset:         40
        .size:           8
        .value_kind:     global_buffer
      - .actual_access:  read_only
        .address_space:  global
        .offset:         48
        .size:           8
        .value_kind:     global_buffer
      - .address_space:  global
        .offset:         56
        .size:           8
        .value_kind:     global_buffer
      - .actual_access:  write_only
        .address_space:  global
        .offset:         64
        .size:           8
        .value_kind:     global_buffer
      - .actual_access:  write_only
        .address_space:  global
        .offset:         72
        .size:           8
        .value_kind:     global_buffer
      - .offset:         80
        .size:           4
        .value_kind:     by_value
      - .offset:         84
        .size:           1
        .value_kind:     by_value
    .group_segment_fixed_size: 5120
    .kernarg_segment_align: 8
    .kernarg_segment_size: 88
    .language:       OpenCL C
    .language_version:
      - 2
      - 0
    .max_flat_workgroup_size: 256
    .name:           _ZN9rocsparseL26coomvn_aos_segmented_loopsILj256Eid21rocsparse_complex_numIdES2_S2_EEvlT0_NS_24const_host_device_scalarIT4_EEPKS3_PKT1_PKT2_PT3_PS3_PS5_21rocsparse_index_base_b
    .private_segment_fixed_size: 0
    .sgpr_count:     48
    .sgpr_spill_count: 0
    .symbol:         _ZN9rocsparseL26coomvn_aos_segmented_loopsILj256Eid21rocsparse_complex_numIdES2_S2_EEvlT0_NS_24const_host_device_scalarIT4_EEPKS3_PKT1_PKT2_PT3_PS3_PS5_21rocsparse_index_base_b.kd
    .uniform_work_group_size: 1
    .uses_dynamic_stack: false
    .vgpr_count:     38
    .vgpr_spill_count: 0
    .wavefront_size: 64
  - .args:
      - .offset:         0
        .size:           8
        .value_kind:     by_value
      - .offset:         8
        .size:           16
        .value_kind:     by_value
      - .actual_access:  read_only
        .address_space:  global
        .offset:         24
        .size:           8
        .value_kind:     global_buffer
      - .actual_access:  read_only
        .address_space:  global
        .offset:         32
        .size:           8
        .value_kind:     global_buffer
      - .actual_access:  read_only
        .address_space:  global
        .offset:         40
        .size:           8
        .value_kind:     global_buffer
      - .address_space:  global
        .offset:         48
        .size:           8
        .value_kind:     global_buffer
      - .offset:         56
        .size:           4
        .value_kind:     by_value
      - .offset:         60
        .size:           1
        .value_kind:     by_value
    .group_segment_fixed_size: 6144
    .kernarg_segment_align: 8
    .kernarg_segment_size: 64
    .language:       OpenCL C
    .language_version:
      - 2
      - 0
    .max_flat_workgroup_size: 256
    .name:           _ZN9rocsparseL23coomvn_aos_atomic_loopsILj256ELj1Eld21rocsparse_complex_numIdES2_S2_EEvlNS_24const_host_device_scalarIT5_EEPKT1_PKT2_PKT3_PT4_21rocsparse_index_base_b
    .private_segment_fixed_size: 0
    .sgpr_count:     16
    .sgpr_spill_count: 0
    .symbol:         _ZN9rocsparseL23coomvn_aos_atomic_loopsILj256ELj1Eld21rocsparse_complex_numIdES2_S2_EEvlNS_24const_host_device_scalarIT5_EEPKT1_PKT2_PKT3_PT4_21rocsparse_index_base_b.kd
    .uniform_work_group_size: 1
    .uses_dynamic_stack: false
    .vgpr_count:     19
    .vgpr_spill_count: 0
    .wavefront_size: 64
  - .args:
      - .offset:         0
        .size:           4
        .value_kind:     by_value
      - .offset:         8
        .size:           8
        .value_kind:     by_value
      - .offset:         16
        .size:           16
        .value_kind:     by_value
      - .actual_access:  read_only
        .address_space:  global
        .offset:         32
        .size:           8
        .value_kind:     global_buffer
      - .actual_access:  read_only
        .address_space:  global
        .offset:         40
        .size:           8
        .value_kind:     global_buffer
      - .actual_access:  read_only
        .address_space:  global
        .offset:         48
        .size:           8
        .value_kind:     global_buffer
      - .address_space:  global
        .offset:         56
        .size:           8
        .value_kind:     global_buffer
      - .offset:         64
        .size:           4
        .value_kind:     by_value
      - .offset:         68
        .size:           1
        .value_kind:     by_value
      - .offset:         72
        .size:           4
        .value_kind:     hidden_block_count_x
      - .offset:         76
        .size:           4
        .value_kind:     hidden_block_count_y
      - .offset:         80
        .size:           4
        .value_kind:     hidden_block_count_z
      - .offset:         84
        .size:           2
        .value_kind:     hidden_group_size_x
      - .offset:         86
        .size:           2
        .value_kind:     hidden_group_size_y
      - .offset:         88
        .size:           2
        .value_kind:     hidden_group_size_z
      - .offset:         90
        .size:           2
        .value_kind:     hidden_remainder_x
      - .offset:         92
        .size:           2
        .value_kind:     hidden_remainder_y
      - .offset:         94
        .size:           2
        .value_kind:     hidden_remainder_z
      - .offset:         112
        .size:           8
        .value_kind:     hidden_global_offset_x
      - .offset:         120
        .size:           8
        .value_kind:     hidden_global_offset_y
      - .offset:         128
        .size:           8
        .value_kind:     hidden_global_offset_z
      - .offset:         136
        .size:           2
        .value_kind:     hidden_grid_dims
    .group_segment_fixed_size: 0
    .kernarg_segment_align: 8
    .kernarg_segment_size: 328
    .language:       OpenCL C
    .language_version:
      - 2
      - 0
    .max_flat_workgroup_size: 1024
    .name:           _ZN9rocsparseL17coomvt_aos_kernelILj1024Eld21rocsparse_complex_numIdES2_S2_EEv20rocsparse_operation_lNS_24const_host_device_scalarIT4_EEPKT0_PKT1_PKT2_PT3_21rocsparse_index_base_b
    .private_segment_fixed_size: 0
    .sgpr_count:     20
    .sgpr_spill_count: 0
    .symbol:         _ZN9rocsparseL17coomvt_aos_kernelILj1024Eld21rocsparse_complex_numIdES2_S2_EEv20rocsparse_operation_lNS_24const_host_device_scalarIT4_EEPKT0_PKT1_PKT2_PT3_21rocsparse_index_base_b.kd
    .uniform_work_group_size: 1
    .uses_dynamic_stack: false
    .vgpr_count:     21
    .vgpr_spill_count: 0
    .wavefront_size: 64
  - .args:
      - .offset:         0
        .size:           8
        .value_kind:     by_value
      - .offset:         8
        .size:           8
        .value_kind:     by_value
      - .offset:         16
        .size:           16
        .value_kind:     by_value
      - .actual_access:  read_only
        .address_space:  global
        .offset:         32
        .size:           8
        .value_kind:     global_buffer
      - .actual_access:  read_only
        .address_space:  global
        .offset:         40
        .size:           8
        .value_kind:     global_buffer
      - .actual_access:  read_only
        .address_space:  global
        .offset:         48
        .size:           8
        .value_kind:     global_buffer
      - .address_space:  global
        .offset:         56
        .size:           8
        .value_kind:     global_buffer
      - .actual_access:  write_only
        .address_space:  global
        .offset:         64
        .size:           8
        .value_kind:     global_buffer
      - .actual_access:  write_only
        .address_space:  global
        .offset:         72
        .size:           8
        .value_kind:     global_buffer
      - .offset:         80
        .size:           4
        .value_kind:     by_value
      - .offset:         84
        .size:           1
        .value_kind:     by_value
    .group_segment_fixed_size: 6144
    .kernarg_segment_align: 8
    .kernarg_segment_size: 88
    .language:       OpenCL C
    .language_version:
      - 2
      - 0
    .max_flat_workgroup_size: 256
    .name:           _ZN9rocsparseL26coomvn_aos_segmented_loopsILj256Eld21rocsparse_complex_numIdES2_S2_EEvlT0_NS_24const_host_device_scalarIT4_EEPKS3_PKT1_PKT2_PT3_PS3_PS5_21rocsparse_index_base_b
    .private_segment_fixed_size: 0
    .sgpr_count:     50
    .sgpr_spill_count: 0
    .symbol:         _ZN9rocsparseL26coomvn_aos_segmented_loopsILj256Eld21rocsparse_complex_numIdES2_S2_EEvlT0_NS_24const_host_device_scalarIT4_EEPKS3_PKT1_PKT2_PT3_PS3_PS5_21rocsparse_index_base_b.kd
    .uniform_work_group_size: 1
    .uses_dynamic_stack: false
    .vgpr_count:     38
    .vgpr_spill_count: 0
    .wavefront_size: 64
  - .args:
      - .offset:         0
        .size:           8
        .value_kind:     by_value
      - .offset:         8
        .size:           8
        .value_kind:     by_value
      - .actual_access:  read_only
        .address_space:  global
        .offset:         16
        .size:           8
        .value_kind:     global_buffer
      - .actual_access:  read_only
        .address_space:  global
        .offset:         24
        .size:           8
        .value_kind:     global_buffer
      - .actual_access:  read_only
        .address_space:  global
        .offset:         32
        .size:           8
        .value_kind:     global_buffer
      - .address_space:  global
        .offset:         40
        .size:           8
        .value_kind:     global_buffer
      - .offset:         48
        .size:           4
        .value_kind:     by_value
      - .offset:         52
        .size:           1
        .value_kind:     by_value
    .group_segment_fixed_size: 3072
    .kernarg_segment_align: 8
    .kernarg_segment_size: 56
    .language:       OpenCL C
    .language_version:
      - 2
      - 0
    .max_flat_workgroup_size: 256
    .name:           _ZN9rocsparseL23coomvn_aos_atomic_loopsILj256ELj1EifdddEEvlNS_24const_host_device_scalarIT5_EEPKT1_PKT2_PKT3_PT4_21rocsparse_index_base_b
    .private_segment_fixed_size: 0
    .sgpr_count:     20
    .sgpr_spill_count: 0
    .symbol:         _ZN9rocsparseL23coomvn_aos_atomic_loopsILj256ELj1EifdddEEvlNS_24const_host_device_scalarIT5_EEPKT1_PKT2_PKT3_PT4_21rocsparse_index_base_b.kd
    .uniform_work_group_size: 1
    .uses_dynamic_stack: false
    .vgpr_count:     14
    .vgpr_spill_count: 0
    .wavefront_size: 64
  - .args:
      - .offset:         0
        .size:           4
        .value_kind:     by_value
      - .offset:         8
        .size:           8
        .value_kind:     by_value
      - .offset:         16
        .size:           8
        .value_kind:     by_value
      - .actual_access:  read_only
        .address_space:  global
        .offset:         24
        .size:           8
        .value_kind:     global_buffer
      - .actual_access:  read_only
        .address_space:  global
        .offset:         32
        .size:           8
        .value_kind:     global_buffer
      - .actual_access:  read_only
        .address_space:  global
        .offset:         40
        .size:           8
        .value_kind:     global_buffer
      - .address_space:  global
        .offset:         48
        .size:           8
        .value_kind:     global_buffer
      - .offset:         56
        .size:           4
        .value_kind:     by_value
      - .offset:         60
        .size:           1
        .value_kind:     by_value
      - .offset:         64
        .size:           4
        .value_kind:     hidden_block_count_x
      - .offset:         68
        .size:           4
        .value_kind:     hidden_block_count_y
      - .offset:         72
        .size:           4
        .value_kind:     hidden_block_count_z
      - .offset:         76
        .size:           2
        .value_kind:     hidden_group_size_x
      - .offset:         78
        .size:           2
        .value_kind:     hidden_group_size_y
      - .offset:         80
        .size:           2
        .value_kind:     hidden_group_size_z
      - .offset:         82
        .size:           2
        .value_kind:     hidden_remainder_x
      - .offset:         84
        .size:           2
        .value_kind:     hidden_remainder_y
      - .offset:         86
        .size:           2
        .value_kind:     hidden_remainder_z
      - .offset:         104
        .size:           8
        .value_kind:     hidden_global_offset_x
      - .offset:         112
        .size:           8
        .value_kind:     hidden_global_offset_y
      - .offset:         120
        .size:           8
        .value_kind:     hidden_global_offset_z
      - .offset:         128
        .size:           2
        .value_kind:     hidden_grid_dims
    .group_segment_fixed_size: 0
    .kernarg_segment_align: 8
    .kernarg_segment_size: 320
    .language:       OpenCL C
    .language_version:
      - 2
      - 0
    .max_flat_workgroup_size: 1024
    .name:           _ZN9rocsparseL17coomvt_aos_kernelILj1024EifdddEEv20rocsparse_operation_lNS_24const_host_device_scalarIT4_EEPKT0_PKT1_PKT2_PT3_21rocsparse_index_base_b
    .private_segment_fixed_size: 0
    .sgpr_count:     22
    .sgpr_spill_count: 0
    .symbol:         _ZN9rocsparseL17coomvt_aos_kernelILj1024EifdddEEv20rocsparse_operation_lNS_24const_host_device_scalarIT4_EEPKT0_PKT1_PKT2_PT3_21rocsparse_index_base_b.kd
    .uniform_work_group_size: 1
    .uses_dynamic_stack: false
    .vgpr_count:     10
    .vgpr_spill_count: 0
    .wavefront_size: 64
  - .args:
      - .offset:         0
        .size:           8
        .value_kind:     by_value
      - .offset:         8
        .size:           4
        .value_kind:     by_value
      - .offset:         16
        .size:           8
        .value_kind:     by_value
      - .actual_access:  read_only
        .address_space:  global
        .offset:         24
        .size:           8
        .value_kind:     global_buffer
      - .actual_access:  read_only
        .address_space:  global
        .offset:         32
        .size:           8
        .value_kind:     global_buffer
      - .actual_access:  read_only
        .address_space:  global
        .offset:         40
        .size:           8
        .value_kind:     global_buffer
      - .address_space:  global
        .offset:         48
        .size:           8
        .value_kind:     global_buffer
      - .actual_access:  write_only
        .address_space:  global
        .offset:         56
        .size:           8
        .value_kind:     global_buffer
      - .actual_access:  write_only
        .address_space:  global
        .offset:         64
        .size:           8
        .value_kind:     global_buffer
      - .offset:         72
        .size:           4
        .value_kind:     by_value
      - .offset:         76
        .size:           1
        .value_kind:     by_value
    .group_segment_fixed_size: 3072
    .kernarg_segment_align: 8
    .kernarg_segment_size: 80
    .language:       OpenCL C
    .language_version:
      - 2
      - 0
    .max_flat_workgroup_size: 256
    .name:           _ZN9rocsparseL26coomvn_aos_segmented_loopsILj256EifdddEEvlT0_NS_24const_host_device_scalarIT4_EEPKS1_PKT1_PKT2_PT3_PS1_PS3_21rocsparse_index_base_b
    .private_segment_fixed_size: 0
    .sgpr_count:     47
    .sgpr_spill_count: 0
    .symbol:         _ZN9rocsparseL26coomvn_aos_segmented_loopsILj256EifdddEEvlT0_NS_24const_host_device_scalarIT4_EEPKS1_PKT1_PKT2_PT3_PS1_PS3_21rocsparse_index_base_b.kd
    .uniform_work_group_size: 1
    .uses_dynamic_stack: false
    .vgpr_count:     35
    .vgpr_spill_count: 0
    .wavefront_size: 64
  - .args:
      - .offset:         0
        .size:           8
        .value_kind:     by_value
      - .offset:         8
        .size:           8
        .value_kind:     by_value
      - .actual_access:  read_only
        .address_space:  global
        .offset:         16
        .size:           8
        .value_kind:     global_buffer
      - .actual_access:  read_only
        .address_space:  global
        .offset:         24
        .size:           8
        .value_kind:     global_buffer
      - .actual_access:  read_only
        .address_space:  global
        .offset:         32
        .size:           8
        .value_kind:     global_buffer
      - .address_space:  global
        .offset:         40
        .size:           8
        .value_kind:     global_buffer
      - .offset:         48
        .size:           4
        .value_kind:     by_value
      - .offset:         52
        .size:           1
        .value_kind:     by_value
    .group_segment_fixed_size: 4096
    .kernarg_segment_align: 8
    .kernarg_segment_size: 56
    .language:       OpenCL C
    .language_version:
      - 2
      - 0
    .max_flat_workgroup_size: 256
    .name:           _ZN9rocsparseL23coomvn_aos_atomic_loopsILj256ELj1ElfdddEEvlNS_24const_host_device_scalarIT5_EEPKT1_PKT2_PKT3_PT4_21rocsparse_index_base_b
    .private_segment_fixed_size: 0
    .sgpr_count:     20
    .sgpr_spill_count: 0
    .symbol:         _ZN9rocsparseL23coomvn_aos_atomic_loopsILj256ELj1ElfdddEEvlNS_24const_host_device_scalarIT5_EEPKT1_PKT2_PKT3_PT4_21rocsparse_index_base_b.kd
    .uniform_work_group_size: 1
    .uses_dynamic_stack: false
    .vgpr_count:     15
    .vgpr_spill_count: 0
    .wavefront_size: 64
  - .args:
      - .offset:         0
        .size:           4
        .value_kind:     by_value
      - .offset:         8
        .size:           8
        .value_kind:     by_value
      - .offset:         16
        .size:           8
        .value_kind:     by_value
      - .actual_access:  read_only
        .address_space:  global
        .offset:         24
        .size:           8
        .value_kind:     global_buffer
      - .actual_access:  read_only
        .address_space:  global
        .offset:         32
        .size:           8
        .value_kind:     global_buffer
      - .actual_access:  read_only
        .address_space:  global
        .offset:         40
        .size:           8
        .value_kind:     global_buffer
      - .address_space:  global
        .offset:         48
        .size:           8
        .value_kind:     global_buffer
      - .offset:         56
        .size:           4
        .value_kind:     by_value
      - .offset:         60
        .size:           1
        .value_kind:     by_value
      - .offset:         64
        .size:           4
        .value_kind:     hidden_block_count_x
      - .offset:         68
        .size:           4
        .value_kind:     hidden_block_count_y
      - .offset:         72
        .size:           4
        .value_kind:     hidden_block_count_z
      - .offset:         76
        .size:           2
        .value_kind:     hidden_group_size_x
      - .offset:         78
        .size:           2
        .value_kind:     hidden_group_size_y
      - .offset:         80
        .size:           2
        .value_kind:     hidden_group_size_z
      - .offset:         82
        .size:           2
        .value_kind:     hidden_remainder_x
      - .offset:         84
        .size:           2
        .value_kind:     hidden_remainder_y
      - .offset:         86
        .size:           2
        .value_kind:     hidden_remainder_z
      - .offset:         104
        .size:           8
        .value_kind:     hidden_global_offset_x
      - .offset:         112
        .size:           8
        .value_kind:     hidden_global_offset_y
      - .offset:         120
        .size:           8
        .value_kind:     hidden_global_offset_z
      - .offset:         128
        .size:           2
        .value_kind:     hidden_grid_dims
    .group_segment_fixed_size: 0
    .kernarg_segment_align: 8
    .kernarg_segment_size: 320
    .language:       OpenCL C
    .language_version:
      - 2
      - 0
    .max_flat_workgroup_size: 1024
    .name:           _ZN9rocsparseL17coomvt_aos_kernelILj1024ElfdddEEv20rocsparse_operation_lNS_24const_host_device_scalarIT4_EEPKT0_PKT1_PKT2_PT3_21rocsparse_index_base_b
    .private_segment_fixed_size: 0
    .sgpr_count:     22
    .sgpr_spill_count: 0
    .symbol:         _ZN9rocsparseL17coomvt_aos_kernelILj1024ElfdddEEv20rocsparse_operation_lNS_24const_host_device_scalarIT4_EEPKT0_PKT1_PKT2_PT3_21rocsparse_index_base_b.kd
    .uniform_work_group_size: 1
    .uses_dynamic_stack: false
    .vgpr_count:     11
    .vgpr_spill_count: 0
    .wavefront_size: 64
  - .args:
      - .offset:         0
        .size:           8
        .value_kind:     by_value
      - .offset:         8
        .size:           8
        .value_kind:     by_value
      - .offset:         16
        .size:           8
        .value_kind:     by_value
      - .actual_access:  read_only
        .address_space:  global
        .offset:         24
        .size:           8
        .value_kind:     global_buffer
      - .actual_access:  read_only
        .address_space:  global
        .offset:         32
        .size:           8
        .value_kind:     global_buffer
      - .actual_access:  read_only
        .address_space:  global
        .offset:         40
        .size:           8
        .value_kind:     global_buffer
      - .address_space:  global
        .offset:         48
        .size:           8
        .value_kind:     global_buffer
      - .actual_access:  write_only
        .address_space:  global
        .offset:         56
        .size:           8
        .value_kind:     global_buffer
      - .actual_access:  write_only
        .address_space:  global
        .offset:         64
        .size:           8
        .value_kind:     global_buffer
      - .offset:         72
        .size:           4
        .value_kind:     by_value
      - .offset:         76
        .size:           1
        .value_kind:     by_value
    .group_segment_fixed_size: 4096
    .kernarg_segment_align: 8
    .kernarg_segment_size: 80
    .language:       OpenCL C
    .language_version:
      - 2
      - 0
    .max_flat_workgroup_size: 256
    .name:           _ZN9rocsparseL26coomvn_aos_segmented_loopsILj256ElfdddEEvlT0_NS_24const_host_device_scalarIT4_EEPKS1_PKT1_PKT2_PT3_PS1_PS3_21rocsparse_index_base_b
    .private_segment_fixed_size: 0
    .sgpr_count:     50
    .sgpr_spill_count: 0
    .symbol:         _ZN9rocsparseL26coomvn_aos_segmented_loopsILj256ElfdddEEvlT0_NS_24const_host_device_scalarIT4_EEPKS1_PKT1_PKT2_PT3_PS1_PS3_21rocsparse_index_base_b.kd
    .uniform_work_group_size: 1
    .uses_dynamic_stack: false
    .vgpr_count:     34
    .vgpr_spill_count: 0
    .wavefront_size: 64
  - .args:
      - .offset:         0
        .size:           8
        .value_kind:     by_value
      - .offset:         8
        .size:           16
        .value_kind:     by_value
      - .actual_access:  read_only
        .address_space:  global
        .offset:         24
        .size:           8
        .value_kind:     global_buffer
      - .actual_access:  read_only
        .address_space:  global
        .offset:         32
        .size:           8
        .value_kind:     global_buffer
      - .actual_access:  read_only
        .address_space:  global
        .offset:         40
        .size:           8
        .value_kind:     global_buffer
      - .address_space:  global
        .offset:         48
        .size:           8
        .value_kind:     global_buffer
      - .offset:         56
        .size:           4
        .value_kind:     by_value
      - .offset:         60
        .size:           1
        .value_kind:     by_value
    .group_segment_fixed_size: 5120
    .kernarg_segment_align: 8
    .kernarg_segment_size: 64
    .language:       OpenCL C
    .language_version:
      - 2
      - 0
    .max_flat_workgroup_size: 256
    .name:           _ZN9rocsparseL23coomvn_aos_atomic_loopsILj256ELj1Ei21rocsparse_complex_numIfES1_IdES3_S3_EEvlNS_24const_host_device_scalarIT5_EEPKT1_PKT2_PKT3_PT4_21rocsparse_index_base_b
    .private_segment_fixed_size: 0
    .sgpr_count:     16
    .sgpr_spill_count: 0
    .symbol:         _ZN9rocsparseL23coomvn_aos_atomic_loopsILj256ELj1Ei21rocsparse_complex_numIfES1_IdES3_S3_EEvlNS_24const_host_device_scalarIT5_EEPKT1_PKT2_PKT3_PT4_21rocsparse_index_base_b.kd
    .uniform_work_group_size: 1
    .uses_dynamic_stack: false
    .vgpr_count:     18
    .vgpr_spill_count: 0
    .wavefront_size: 64
  - .args:
      - .offset:         0
        .size:           4
        .value_kind:     by_value
      - .offset:         8
        .size:           8
        .value_kind:     by_value
      - .offset:         16
        .size:           16
        .value_kind:     by_value
      - .actual_access:  read_only
        .address_space:  global
        .offset:         32
        .size:           8
        .value_kind:     global_buffer
      - .actual_access:  read_only
        .address_space:  global
        .offset:         40
        .size:           8
        .value_kind:     global_buffer
      - .actual_access:  read_only
        .address_space:  global
        .offset:         48
        .size:           8
        .value_kind:     global_buffer
      - .address_space:  global
        .offset:         56
        .size:           8
        .value_kind:     global_buffer
      - .offset:         64
        .size:           4
        .value_kind:     by_value
      - .offset:         68
        .size:           1
        .value_kind:     by_value
      - .offset:         72
        .size:           4
        .value_kind:     hidden_block_count_x
      - .offset:         76
        .size:           4
        .value_kind:     hidden_block_count_y
      - .offset:         80
        .size:           4
        .value_kind:     hidden_block_count_z
      - .offset:         84
        .size:           2
        .value_kind:     hidden_group_size_x
      - .offset:         86
        .size:           2
        .value_kind:     hidden_group_size_y
      - .offset:         88
        .size:           2
        .value_kind:     hidden_group_size_z
      - .offset:         90
        .size:           2
        .value_kind:     hidden_remainder_x
      - .offset:         92
        .size:           2
        .value_kind:     hidden_remainder_y
      - .offset:         94
        .size:           2
        .value_kind:     hidden_remainder_z
      - .offset:         112
        .size:           8
        .value_kind:     hidden_global_offset_x
      - .offset:         120
        .size:           8
        .value_kind:     hidden_global_offset_y
      - .offset:         128
        .size:           8
        .value_kind:     hidden_global_offset_z
      - .offset:         136
        .size:           2
        .value_kind:     hidden_grid_dims
    .group_segment_fixed_size: 0
    .kernarg_segment_align: 8
    .kernarg_segment_size: 328
    .language:       OpenCL C
    .language_version:
      - 2
      - 0
    .max_flat_workgroup_size: 1024
    .name:           _ZN9rocsparseL17coomvt_aos_kernelILj1024Ei21rocsparse_complex_numIfES1_IdES3_S3_EEv20rocsparse_operation_lNS_24const_host_device_scalarIT4_EEPKT0_PKT1_PKT2_PT3_21rocsparse_index_base_b
    .private_segment_fixed_size: 0
    .sgpr_count:     20
    .sgpr_spill_count: 0
    .symbol:         _ZN9rocsparseL17coomvt_aos_kernelILj1024Ei21rocsparse_complex_numIfES1_IdES3_S3_EEv20rocsparse_operation_lNS_24const_host_device_scalarIT4_EEPKT0_PKT1_PKT2_PT3_21rocsparse_index_base_b.kd
    .uniform_work_group_size: 1
    .uses_dynamic_stack: false
    .vgpr_count:     20
    .vgpr_spill_count: 0
    .wavefront_size: 64
  - .args:
      - .offset:         0
        .size:           8
        .value_kind:     by_value
      - .offset:         8
        .size:           4
        .value_kind:     by_value
      - .offset:         16
        .size:           16
        .value_kind:     by_value
      - .actual_access:  read_only
        .address_space:  global
        .offset:         32
        .size:           8
        .value_kind:     global_buffer
      - .actual_access:  read_only
        .address_space:  global
        .offset:         40
        .size:           8
        .value_kind:     global_buffer
      - .actual_access:  read_only
        .address_space:  global
        .offset:         48
        .size:           8
        .value_kind:     global_buffer
      - .address_space:  global
        .offset:         56
        .size:           8
        .value_kind:     global_buffer
      - .actual_access:  write_only
        .address_space:  global
        .offset:         64
        .size:           8
        .value_kind:     global_buffer
      - .actual_access:  write_only
        .address_space:  global
        .offset:         72
        .size:           8
        .value_kind:     global_buffer
      - .offset:         80
        .size:           4
        .value_kind:     by_value
      - .offset:         84
        .size:           1
        .value_kind:     by_value
    .group_segment_fixed_size: 5120
    .kernarg_segment_align: 8
    .kernarg_segment_size: 88
    .language:       OpenCL C
    .language_version:
      - 2
      - 0
    .max_flat_workgroup_size: 256
    .name:           _ZN9rocsparseL26coomvn_aos_segmented_loopsILj256Ei21rocsparse_complex_numIfES1_IdES3_S3_EEvlT0_NS_24const_host_device_scalarIT4_EEPKS4_PKT1_PKT2_PT3_PS4_PS6_21rocsparse_index_base_b
    .private_segment_fixed_size: 0
    .sgpr_count:     47
    .sgpr_spill_count: 0
    .symbol:         _ZN9rocsparseL26coomvn_aos_segmented_loopsILj256Ei21rocsparse_complex_numIfES1_IdES3_S3_EEvlT0_NS_24const_host_device_scalarIT4_EEPKS4_PKT1_PKT2_PT3_PS4_PS6_21rocsparse_index_base_b.kd
    .uniform_work_group_size: 1
    .uses_dynamic_stack: false
    .vgpr_count:     38
    .vgpr_spill_count: 0
    .wavefront_size: 64
  - .args:
      - .offset:         0
        .size:           8
        .value_kind:     by_value
      - .offset:         8
        .size:           16
        .value_kind:     by_value
      - .actual_access:  read_only
        .address_space:  global
        .offset:         24
        .size:           8
        .value_kind:     global_buffer
      - .actual_access:  read_only
        .address_space:  global
        .offset:         32
        .size:           8
        .value_kind:     global_buffer
      - .actual_access:  read_only
        .address_space:  global
        .offset:         40
        .size:           8
        .value_kind:     global_buffer
      - .address_space:  global
        .offset:         48
        .size:           8
        .value_kind:     global_buffer
      - .offset:         56
        .size:           4
        .value_kind:     by_value
      - .offset:         60
        .size:           1
        .value_kind:     by_value
    .group_segment_fixed_size: 6144
    .kernarg_segment_align: 8
    .kernarg_segment_size: 64
    .language:       OpenCL C
    .language_version:
      - 2
      - 0
    .max_flat_workgroup_size: 256
    .name:           _ZN9rocsparseL23coomvn_aos_atomic_loopsILj256ELj1El21rocsparse_complex_numIfES1_IdES3_S3_EEvlNS_24const_host_device_scalarIT5_EEPKT1_PKT2_PKT3_PT4_21rocsparse_index_base_b
    .private_segment_fixed_size: 0
    .sgpr_count:     16
    .sgpr_spill_count: 0
    .symbol:         _ZN9rocsparseL23coomvn_aos_atomic_loopsILj256ELj1El21rocsparse_complex_numIfES1_IdES3_S3_EEvlNS_24const_host_device_scalarIT5_EEPKT1_PKT2_PKT3_PT4_21rocsparse_index_base_b.kd
    .uniform_work_group_size: 1
    .uses_dynamic_stack: false
    .vgpr_count:     19
    .vgpr_spill_count: 0
    .wavefront_size: 64
  - .args:
      - .offset:         0
        .size:           4
        .value_kind:     by_value
      - .offset:         8
        .size:           8
        .value_kind:     by_value
      - .offset:         16
        .size:           16
        .value_kind:     by_value
      - .actual_access:  read_only
        .address_space:  global
        .offset:         32
        .size:           8
        .value_kind:     global_buffer
      - .actual_access:  read_only
        .address_space:  global
        .offset:         40
        .size:           8
        .value_kind:     global_buffer
      - .actual_access:  read_only
        .address_space:  global
        .offset:         48
        .size:           8
        .value_kind:     global_buffer
      - .address_space:  global
        .offset:         56
        .size:           8
        .value_kind:     global_buffer
      - .offset:         64
        .size:           4
        .value_kind:     by_value
      - .offset:         68
        .size:           1
        .value_kind:     by_value
      - .offset:         72
        .size:           4
        .value_kind:     hidden_block_count_x
      - .offset:         76
        .size:           4
        .value_kind:     hidden_block_count_y
      - .offset:         80
        .size:           4
        .value_kind:     hidden_block_count_z
      - .offset:         84
        .size:           2
        .value_kind:     hidden_group_size_x
      - .offset:         86
        .size:           2
        .value_kind:     hidden_group_size_y
      - .offset:         88
        .size:           2
        .value_kind:     hidden_group_size_z
      - .offset:         90
        .size:           2
        .value_kind:     hidden_remainder_x
      - .offset:         92
        .size:           2
        .value_kind:     hidden_remainder_y
      - .offset:         94
        .size:           2
        .value_kind:     hidden_remainder_z
      - .offset:         112
        .size:           8
        .value_kind:     hidden_global_offset_x
      - .offset:         120
        .size:           8
        .value_kind:     hidden_global_offset_y
      - .offset:         128
        .size:           8
        .value_kind:     hidden_global_offset_z
      - .offset:         136
        .size:           2
        .value_kind:     hidden_grid_dims
    .group_segment_fixed_size: 0
    .kernarg_segment_align: 8
    .kernarg_segment_size: 328
    .language:       OpenCL C
    .language_version:
      - 2
      - 0
    .max_flat_workgroup_size: 1024
    .name:           _ZN9rocsparseL17coomvt_aos_kernelILj1024El21rocsparse_complex_numIfES1_IdES3_S3_EEv20rocsparse_operation_lNS_24const_host_device_scalarIT4_EEPKT0_PKT1_PKT2_PT3_21rocsparse_index_base_b
    .private_segment_fixed_size: 0
    .sgpr_count:     20
    .sgpr_spill_count: 0
    .symbol:         _ZN9rocsparseL17coomvt_aos_kernelILj1024El21rocsparse_complex_numIfES1_IdES3_S3_EEv20rocsparse_operation_lNS_24const_host_device_scalarIT4_EEPKT0_PKT1_PKT2_PT3_21rocsparse_index_base_b.kd
    .uniform_work_group_size: 1
    .uses_dynamic_stack: false
    .vgpr_count:     20
    .vgpr_spill_count: 0
    .wavefront_size: 64
  - .args:
      - .offset:         0
        .size:           8
        .value_kind:     by_value
      - .offset:         8
        .size:           8
        .value_kind:     by_value
      - .offset:         16
        .size:           16
        .value_kind:     by_value
      - .actual_access:  read_only
        .address_space:  global
        .offset:         32
        .size:           8
        .value_kind:     global_buffer
      - .actual_access:  read_only
        .address_space:  global
        .offset:         40
        .size:           8
        .value_kind:     global_buffer
      - .actual_access:  read_only
        .address_space:  global
        .offset:         48
        .size:           8
        .value_kind:     global_buffer
      - .address_space:  global
        .offset:         56
        .size:           8
        .value_kind:     global_buffer
      - .actual_access:  write_only
        .address_space:  global
        .offset:         64
        .size:           8
        .value_kind:     global_buffer
      - .actual_access:  write_only
        .address_space:  global
        .offset:         72
        .size:           8
        .value_kind:     global_buffer
      - .offset:         80
        .size:           4
        .value_kind:     by_value
      - .offset:         84
        .size:           1
        .value_kind:     by_value
    .group_segment_fixed_size: 6144
    .kernarg_segment_align: 8
    .kernarg_segment_size: 88
    .language:       OpenCL C
    .language_version:
      - 2
      - 0
    .max_flat_workgroup_size: 256
    .name:           _ZN9rocsparseL26coomvn_aos_segmented_loopsILj256El21rocsparse_complex_numIfES1_IdES3_S3_EEvlT0_NS_24const_host_device_scalarIT4_EEPKS4_PKT1_PKT2_PT3_PS4_PS6_21rocsparse_index_base_b
    .private_segment_fixed_size: 0
    .sgpr_count:     50
    .sgpr_spill_count: 0
    .symbol:         _ZN9rocsparseL26coomvn_aos_segmented_loopsILj256El21rocsparse_complex_numIfES1_IdES3_S3_EEvlT0_NS_24const_host_device_scalarIT4_EEPKS4_PKT1_PKT2_PT3_PS4_PS6_21rocsparse_index_base_b.kd
    .uniform_work_group_size: 1
    .uses_dynamic_stack: false
    .vgpr_count:     38
    .vgpr_spill_count: 0
    .wavefront_size: 64
amdhsa.target:   amdgcn-amd-amdhsa--gfx906
amdhsa.version:
  - 1
  - 2
...

	.end_amdgpu_metadata
